;; amdgpu-corpus repo=ROCm/rocFFT kind=compiled arch=gfx906 opt=O3
	.text
	.amdgcn_target "amdgcn-amd-amdhsa--gfx906"
	.amdhsa_code_object_version 6
	.protected	bluestein_single_fwd_len1428_dim1_dp_op_CI_CI ; -- Begin function bluestein_single_fwd_len1428_dim1_dp_op_CI_CI
	.globl	bluestein_single_fwd_len1428_dim1_dp_op_CI_CI
	.p2align	8
	.type	bluestein_single_fwd_len1428_dim1_dp_op_CI_CI,@function
bluestein_single_fwd_len1428_dim1_dp_op_CI_CI: ; @bluestein_single_fwd_len1428_dim1_dp_op_CI_CI
; %bb.0:
	s_mov_b64 s[66:67], s[2:3]
	s_mov_b64 s[64:65], s[0:1]
	s_load_dwordx4 s[0:3], s[4:5], 0x28
	v_mul_u32_u24_e32 v1, 0x227, v0
	v_add_u32_sdwa v208, s6, v1 dst_sel:DWORD dst_unused:UNUSED_PAD src0_sel:DWORD src1_sel:WORD_1
	v_mov_b32_e32 v209, 0
	s_add_u32 s64, s64, s7
	s_waitcnt lgkmcnt(0)
	v_cmp_gt_u64_e32 vcc, s[0:1], v[208:209]
	s_addc_u32 s65, s65, 0
	s_and_saveexec_b64 s[0:1], vcc
	s_cbranch_execz .LBB0_23
; %bb.1:
	s_load_dwordx2 s[12:13], s[4:5], 0x0
	s_load_dwordx2 s[14:15], s[4:5], 0x38
	s_movk_i32 s0, 0x77
	v_mul_lo_u16_sdwa v1, v1, s0 dst_sel:DWORD dst_unused:UNUSED_PAD src0_sel:WORD_1 src1_sel:DWORD
	v_sub_u16_e32 v212, v0, v1
	s_movk_i32 s0, 0x54
	v_cmp_gt_u16_e64 s[0:1], s0, v212
	v_lshlrev_b32_e32 v255, 4, v212
	s_and_saveexec_b64 s[16:17], s[0:1]
	s_cbranch_execz .LBB0_3
; %bb.2:
	s_load_dwordx2 s[6:7], s[4:5], 0x18
	s_waitcnt lgkmcnt(0)
	v_mov_b32_e32 v22, s13
	s_load_dwordx4 s[8:11], s[6:7], 0x0
	s_waitcnt lgkmcnt(0)
	v_mad_u64_u32 v[0:1], s[6:7], s10, v208, 0
	v_mad_u64_u32 v[2:3], s[6:7], s8, v212, 0
	v_mad_u64_u32 v[4:5], s[6:7], s11, v208, v[1:2]
	v_mad_u64_u32 v[5:6], s[6:7], s9, v212, v[3:4]
	v_mov_b32_e32 v1, v4
	v_lshlrev_b64 v[0:1], 4, v[0:1]
	v_mov_b32_e32 v3, v5
	v_mov_b32_e32 v6, s3
	v_lshlrev_b64 v[2:3], 4, v[2:3]
	v_add_co_u32_e32 v0, vcc, s2, v0
	v_addc_co_u32_e32 v1, vcc, v6, v1, vcc
	v_add_co_u32_e32 v20, vcc, v0, v2
	v_addc_co_u32_e32 v21, vcc, v1, v3, vcc
	global_load_dwordx4 v[0:3], v255, s[12:13]
	global_load_dwordx4 v[4:7], v[20:21], off
	v_add_co_u32_e32 v116, vcc, s12, v255
	s_movk_i32 s2, 0x1000
	s_movk_i32 s3, 0x2000
	v_addc_co_u32_e32 v117, vcc, 0, v22, vcc
	s_movk_i32 s6, 0x5000
	v_add_co_u32_e32 v38, vcc, s2, v116
	v_add_co_u32_e64 v86, s[2:3], s3, v116
	v_add_co_u32_e64 v40, s[6:7], s6, v116
	v_addc_co_u32_e32 v39, vcc, 0, v117, vcc
	v_addc_co_u32_e64 v87, vcc, 0, v117, s[2:3]
	s_mul_i32 s2, s9, 0x540
	s_mul_hi_u32 s3, s8, 0x540
	v_addc_co_u32_e64 v41, vcc, 0, v117, s[6:7]
	s_mul_i32 s6, s8, 0x540
	s_add_i32 s2, s3, s2
	global_load_dwordx4 v[8:11], v255, s[12:13] offset:1344
	global_load_dwordx4 v[12:15], v255, s[12:13] offset:2688
	;; [unrolled: 1-line block ×3, first 2 shown]
	global_load_dwordx4 v[22:25], v[38:39], off offset:1280
	global_load_dwordx4 v[26:29], v[38:39], off offset:2624
	;; [unrolled: 1-line block ×4, first 2 shown]
	v_mov_b32_e32 v38, s2
	v_add_co_u32_e32 v20, vcc, s6, v20
	v_addc_co_u32_e32 v21, vcc, v21, v38, vcc
	v_mov_b32_e32 v43, s2
	v_add_co_u32_e32 v42, vcc, s6, v20
	v_addc_co_u32_e32 v43, vcc, v21, v43, vcc
	v_mov_b32_e32 v44, s2
	global_load_dwordx4 v[38:41], v[20:21], off
	v_add_co_u32_e32 v20, vcc, s6, v42
	v_addc_co_u32_e32 v21, vcc, v43, v44, vcc
	v_mov_b32_e32 v50, s2
	v_add_co_u32_e32 v53, vcc, s6, v20
	v_addc_co_u32_e32 v54, vcc, v21, v50, vcc
	v_mov_b32_e32 v55, s2
	global_load_dwordx4 v[42:45], v[42:43], off
	v_mov_b32_e32 v58, s2
	global_load_dwordx4 v[46:49], v[20:21], off
	v_add_co_u32_e32 v20, vcc, s6, v53
	global_load_dwordx4 v[50:53], v[53:54], off
	v_addc_co_u32_e32 v21, vcc, v54, v55, vcc
	v_add_co_u32_e32 v61, vcc, s6, v20
	v_addc_co_u32_e32 v62, vcc, v21, v58, vcc
	v_mov_b32_e32 v63, s2
	global_load_dwordx4 v[54:57], v[20:21], off
	v_add_co_u32_e32 v20, vcc, s6, v61
	v_addc_co_u32_e32 v21, vcc, v62, v63, vcc
	v_mov_b32_e32 v66, s2
	v_add_co_u32_e32 v78, vcc, s6, v20
	v_addc_co_u32_e32 v79, vcc, v21, v66, vcc
	v_mov_b32_e32 v80, s2
	v_add_co_u32_e32 v88, vcc, s6, v78
	v_addc_co_u32_e32 v89, vcc, v79, v80, vcc
	global_load_dwordx4 v[58:61], v[61:62], off
	v_add_co_u32_e32 v90, vcc, s6, v88
	global_load_dwordx4 v[62:65], v[20:21], off
	global_load_dwordx4 v[66:69], v[78:79], off
	global_load_dwordx4 v[70:73], v[86:87], off offset:1216
	global_load_dwordx4 v[74:77], v[86:87], off offset:2560
	s_nop 0
	global_load_dwordx4 v[78:81], v[88:89], off
	global_load_dwordx4 v[82:85], v[86:87], off offset:3904
	v_mov_b32_e32 v86, s2
	v_addc_co_u32_e32 v91, vcc, v89, v86, vcc
	s_movk_i32 s3, 0x3000
	v_add_co_u32_e32 v110, vcc, s3, v116
	v_addc_co_u32_e32 v111, vcc, 0, v117, vcc
	v_mov_b32_e32 v92, s2
	v_add_co_u32_e32 v102, vcc, s6, v90
	v_addc_co_u32_e32 v103, vcc, v91, v92, vcc
	v_mov_b32_e32 v104, s2
	v_add_co_u32_e32 v112, vcc, s6, v102
	v_addc_co_u32_e32 v113, vcc, v103, v104, vcc
	global_load_dwordx4 v[86:89], v[90:91], off
	s_nop 0
	global_load_dwordx4 v[90:93], v[102:103], off
	global_load_dwordx4 v[94:97], v[110:111], off offset:1152
	global_load_dwordx4 v[98:101], v[110:111], off offset:2496
	s_nop 0
	global_load_dwordx4 v[102:105], v[112:113], off
	global_load_dwordx4 v[106:109], v[110:111], off offset:3840
	v_mov_b32_e32 v110, s2
	v_add_co_u32_e32 v114, vcc, s6, v112
	v_addc_co_u32_e32 v115, vcc, v113, v110, vcc
	s_movk_i32 s3, 0x4000
	v_add_co_u32_e32 v130, vcc, s3, v116
	v_addc_co_u32_e32 v131, vcc, 0, v117, vcc
	v_mov_b32_e32 v116, s2
	v_add_co_u32_e32 v126, vcc, s6, v114
	v_addc_co_u32_e32 v127, vcc, v115, v116, vcc
	v_mov_b32_e32 v128, s2
	v_add_co_u32_e32 v134, vcc, s6, v126
	global_load_dwordx4 v[110:113], v[114:115], off
	v_addc_co_u32_e32 v135, vcc, v127, v128, vcc
	global_load_dwordx4 v[114:117], v[126:127], off
	global_load_dwordx4 v[118:121], v[130:131], off offset:1088
	global_load_dwordx4 v[122:125], v[130:131], off offset:2432
	s_nop 0
	global_load_dwordx4 v[126:129], v[134:135], off
	s_nop 0
	global_load_dwordx4 v[130:133], v[130:131], off offset:3776
	v_mov_b32_e32 v136, s2
	v_add_co_u32_e32 v134, vcc, s6, v134
	v_addc_co_u32_e32 v135, vcc, v135, v136, vcc
	global_load_dwordx4 v[134:137], v[134:135], off
	s_waitcnt vmcnt(32)
	v_mul_f64 v[20:21], v[6:7], v[2:3]
	v_mul_f64 v[138:139], v[4:5], v[2:3]
	v_fma_f64 v[2:3], v[4:5], v[0:1], v[20:21]
	v_fma_f64 v[4:5], v[6:7], v[0:1], -v[138:139]
	s_waitcnt vmcnt(24)
	v_mul_f64 v[0:1], v[40:41], v[10:11]
	s_waitcnt vmcnt(23)
	v_mul_f64 v[6:7], v[42:43], v[14:15]
	;; [unrolled: 2-line block ×3, first 2 shown]
	ds_write_b128 v255, v[2:5]
	v_mul_f64 v[2:3], v[38:39], v[10:11]
	v_mul_f64 v[4:5], v[44:45], v[14:15]
	;; [unrolled: 1-line block ×5, first 2 shown]
	v_fma_f64 v[0:1], v[38:39], v[8:9], v[0:1]
	v_fma_f64 v[6:7], v[44:45], v[12:13], -v[6:7]
	v_fma_f64 v[2:3], v[40:41], v[8:9], -v[2:3]
	v_fma_f64 v[4:5], v[42:43], v[12:13], v[4:5]
	v_fma_f64 v[8:9], v[46:47], v[16:17], v[10:11]
	v_fma_f64 v[10:11], v[48:49], v[16:17], -v[14:15]
	v_fma_f64 v[12:13], v[50:51], v[22:23], v[18:19]
	s_waitcnt vmcnt(20)
	v_mul_f64 v[16:17], v[56:57], v[28:29]
	v_mul_f64 v[18:19], v[54:55], v[28:29]
	v_fma_f64 v[14:15], v[52:53], v[22:23], -v[20:21]
	s_waitcnt vmcnt(19)
	v_mul_f64 v[20:21], v[60:61], v[32:33]
	v_mul_f64 v[22:23], v[58:59], v[32:33]
	s_waitcnt vmcnt(16)
	v_mul_f64 v[24:25], v[64:65], v[72:73]
	v_mul_f64 v[28:29], v[62:63], v[72:73]
	;; [unrolled: 3-line block ×3, first 2 shown]
	v_fma_f64 v[16:17], v[54:55], v[26:27], v[16:17]
	v_fma_f64 v[18:19], v[56:57], v[26:27], -v[18:19]
	v_fma_f64 v[20:21], v[58:59], v[30:31], v[20:21]
	v_fma_f64 v[22:23], v[60:61], v[30:31], -v[22:23]
	;; [unrolled: 2-line block ×4, first 2 shown]
	ds_write_b128 v255, v[0:3] offset:1344
	ds_write_b128 v255, v[4:7] offset:2688
	;; [unrolled: 1-line block ×8, first 2 shown]
	s_waitcnt vmcnt(13)
	v_mul_f64 v[0:1], v[80:81], v[84:85]
	v_mul_f64 v[2:3], v[78:79], v[84:85]
	s_waitcnt vmcnt(10)
	v_mul_f64 v[4:5], v[88:89], v[96:97]
	v_mul_f64 v[6:7], v[86:87], v[96:97]
	s_waitcnt vmcnt(9)
	v_mul_f64 v[8:9], v[92:93], v[100:101]
	v_mul_f64 v[10:11], v[90:91], v[100:101]
	s_waitcnt vmcnt(7)
	v_mul_f64 v[12:13], v[104:105], v[108:109]
	v_mul_f64 v[14:15], v[102:103], v[108:109]
	v_fma_f64 v[0:1], v[78:79], v[82:83], v[0:1]
	v_fma_f64 v[2:3], v[80:81], v[82:83], -v[2:3]
	v_fma_f64 v[4:5], v[86:87], v[94:95], v[4:5]
	v_fma_f64 v[6:7], v[88:89], v[94:95], -v[6:7]
	;; [unrolled: 2-line block ×4, first 2 shown]
	s_waitcnt vmcnt(4)
	v_mul_f64 v[16:17], v[112:113], v[120:121]
	v_mul_f64 v[18:19], v[110:111], v[120:121]
	s_waitcnt vmcnt(3)
	v_mul_f64 v[20:21], v[116:117], v[124:125]
	v_mul_f64 v[22:23], v[114:115], v[124:125]
	;; [unrolled: 3-line block ×4, first 2 shown]
	v_fma_f64 v[16:17], v[110:111], v[118:119], v[16:17]
	v_fma_f64 v[18:19], v[112:113], v[118:119], -v[18:19]
	v_fma_f64 v[20:21], v[114:115], v[122:123], v[20:21]
	v_fma_f64 v[22:23], v[116:117], v[122:123], -v[22:23]
	;; [unrolled: 2-line block ×4, first 2 shown]
	ds_write_b128 v255, v[0:3] offset:12096
	ds_write_b128 v255, v[4:7] offset:13440
	;; [unrolled: 1-line block ×8, first 2 shown]
.LBB0_3:
	s_or_b64 exec, exec, s[16:17]
	s_load_dwordx2 s[2:3], s[4:5], 0x20
	s_load_dwordx2 s[8:9], s[4:5], 0x8
	s_waitcnt lgkmcnt(0)
	s_barrier
	s_waitcnt lgkmcnt(0)
                                        ; implicit-def: $vgpr12_vgpr13
                                        ; implicit-def: $vgpr72_vgpr73
                                        ; implicit-def: $vgpr76_vgpr77
                                        ; implicit-def: $vgpr68_vgpr69
                                        ; implicit-def: $vgpr64_vgpr65
                                        ; implicit-def: $vgpr60_vgpr61
                                        ; implicit-def: $vgpr16_vgpr17
                                        ; implicit-def: $vgpr20_vgpr21
                                        ; implicit-def: $vgpr24_vgpr25
                                        ; implicit-def: $vgpr28_vgpr29
                                        ; implicit-def: $vgpr32_vgpr33
                                        ; implicit-def: $vgpr36_vgpr37
                                        ; implicit-def: $vgpr40_vgpr41
                                        ; implicit-def: $vgpr44_vgpr45
                                        ; implicit-def: $vgpr48_vgpr49
                                        ; implicit-def: $vgpr52_vgpr53
                                        ; implicit-def: $vgpr56_vgpr57
	s_and_saveexec_b64 s[4:5], s[0:1]
	s_cbranch_execz .LBB0_5
; %bb.4:
	ds_read_b128 v[12:15], v255
	ds_read_b128 v[72:75], v255 offset:1344
	ds_read_b128 v[76:79], v255 offset:2688
	;; [unrolled: 1-line block ×16, first 2 shown]
.LBB0_5:
	s_or_b64 exec, exec, s[4:5]
	s_waitcnt lgkmcnt(0)
	v_add_f64 v[168:169], v[72:73], -v[56:57]
	s_mov_b32 s30, 0x7c9e640b
	s_mov_b32 s31, 0xbfeca52d
	v_add_f64 v[216:217], v[78:79], -v[54:55]
	v_add_f64 v[202:203], v[76:77], -v[52:53]
	s_mov_b32 s36, 0x6c9a05f6
	s_mov_b32 s37, 0xbfe9895b
	v_add_f64 v[170:171], v[74:75], -v[58:59]
	v_mul_f64 v[10:11], v[168:169], s[30:31]
	s_mov_b32 s28, 0x2a9d6da3
	s_mov_b32 s29, 0xbfe58eea
	v_mul_f64 v[88:89], v[216:217], s[36:37]
	v_mul_f64 v[90:91], v[202:203], s[36:37]
	v_add_f64 v[116:117], v[72:73], v[56:57]
	v_add_f64 v[122:123], v[74:75], v[58:59]
	v_mul_f64 v[196:197], v[168:169], s[28:29]
	buffer_store_dword v10, off, s[64:67], 0 offset:48 ; 4-byte Folded Spill
	s_nop 0
	buffer_store_dword v11, off, s[64:67], 0 offset:52 ; 4-byte Folded Spill
	buffer_store_dword v88, off, s[64:67], 0 offset:32 ; 4-byte Folded Spill
	s_nop 0
	buffer_store_dword v89, off, s[64:67], 0 offset:36 ; 4-byte Folded Spill
	;; [unrolled: 3-line block ×3, first 2 shown]
	v_mul_f64 v[223:224], v[170:171], s[30:31]
	s_mov_b32 s16, 0x75d4884
	s_mov_b32 s6, 0x2b2883cd
	;; [unrolled: 1-line block ×6, first 2 shown]
	v_fma_f64 v[6:7], v[122:123], s[16:17], -v[196:197]
	v_fma_f64 v[8:9], v[116:117], s[6:7], v[223:224]
	v_add_f64 v[136:137], v[76:77], v[52:53]
	v_add_f64 v[140:141], v[78:79], v[54:55]
	v_mul_f64 v[229:230], v[202:203], s[34:35]
	s_mov_b32 s10, 0x3259b75e
	s_mov_b32 s20, 0x6ed5f1bb
	;; [unrolled: 1-line block ×4, first 2 shown]
	v_add_f64 v[6:7], v[14:15], v[6:7]
	v_add_f64 v[8:9], v[12:13], v[8:9]
	v_add_f64 v[237:238], v[70:71], -v[50:51]
	v_fma_f64 v[86:87], v[140:141], s[10:11], -v[229:230]
	v_add_f64 v[227:228], v[68:69], -v[48:49]
	s_mov_b32 s42, 0xacd6c6b4
	s_mov_b32 s43, 0xbfc7851a
	;; [unrolled: 1-line block ×6, first 2 shown]
	v_add_f64 v[6:7], v[86:87], v[6:7]
	v_mul_f64 v[86:87], v[227:228], s[36:37]
	buffer_store_dword v86, off, s[64:67], 0 offset:112 ; 4-byte Folded Spill
	s_nop 0
	buffer_store_dword v87, off, s[64:67], 0 offset:116 ; 4-byte Folded Spill
	v_mul_f64 v[92:93], v[170:171], s[26:27]
	s_mov_b32 s4, 0x370991
	s_mov_b32 s5, 0x3fedd6d0
	v_mul_f64 v[96:97], v[170:171], s[28:29]
	v_mul_f64 v[98:99], v[216:217], s[28:29]
	;; [unrolled: 1-line block ×3, first 2 shown]
	v_add_f64 v[156:157], v[68:69], v[48:49]
	v_mul_f64 v[209:210], v[237:238], s[30:31]
	v_fma_f64 v[0:1], v[116:117], s[4:5], v[92:93]
	v_add_f64 v[160:161], v[70:71], v[50:51]
	v_mul_f64 v[225:226], v[237:238], s[36:37]
	v_fma_f64 v[4:5], v[116:117], s[16:17], v[96:97]
	v_fma_f64 v[80:81], v[136:137], s[16:17], v[98:99]
	;; [unrolled: 1-line block ×3, first 2 shown]
	s_mov_b32 s24, 0x7faef3
	s_mov_b32 s25, 0xbfef7484
	v_add_f64 v[0:1], v[12:13], v[0:1]
	v_add_f64 v[243:244], v[66:67], -v[46:47]
	v_add_f64 v[241:242], v[64:65], -v[44:45]
	v_add_f64 v[4:5], v[12:13], v[4:5]
	s_mov_b32 s40, 0x923c349f
	s_mov_b32 s41, 0xbfeec746
	;; [unrolled: 1-line block ×4, first 2 shown]
	v_add_f64 v[0:1], v[80:81], v[0:1]
	v_fma_f64 v[80:81], v[156:157], s[6:7], v[209:210]
	v_add_f64 v[249:250], v[62:63], -v[42:43]
	v_add_f64 v[4:5], v[84:85], v[4:5]
	v_fma_f64 v[84:85], v[156:157], s[20:21], v[225:226]
	v_mul_f64 v[94:95], v[168:169], s[26:27]
	v_mul_f64 v[104:105], v[202:203], s[28:29]
	;; [unrolled: 1-line block ×3, first 2 shown]
	v_add_f64 v[174:175], v[64:65], v[44:45]
	v_add_f64 v[0:1], v[80:81], v[0:1]
	v_mul_f64 v[235:236], v[243:244], s[34:35]
	v_add_f64 v[180:181], v[66:67], v[46:47]
	v_add_f64 v[4:5], v[84:85], v[4:5]
	v_fma_f64 v[10:11], v[122:123], s[6:7], -v[10:11]
	v_mul_f64 v[84:85], v[241:242], s[42:43]
	v_fma_f64 v[2:3], v[122:123], s[4:5], -v[94:95]
	v_fma_f64 v[88:89], v[136:137], s[20:21], v[88:89]
	v_fma_f64 v[90:91], v[140:141], s[20:21], -v[90:91]
	v_fma_f64 v[82:83], v[140:141], s[16:17], -v[104:105]
	v_mul_f64 v[239:240], v[241:242], s[34:35]
	v_add_f64 v[245:246], v[60:61], -v[40:41]
	v_add_f64 v[10:11], v[14:15], v[10:11]
	s_mov_b32 s18, 0xc61f0d01
	v_add_f64 v[2:3], v[14:15], v[2:3]
	v_add_f64 v[8:9], v[88:89], v[8:9]
	v_mul_f64 v[88:89], v[237:238], s[44:45]
	s_mov_b32 s48, 0x4363dd80
	s_mov_b32 s19, 0xbfd183b1
	;; [unrolled: 1-line block ×3, first 2 shown]
	v_add_f64 v[10:11], v[90:91], v[10:11]
	v_mul_f64 v[90:91], v[227:228], s[44:45]
	buffer_store_dword v88, off, s[64:67], 0 offset:144 ; 4-byte Folded Spill
	s_nop 0
	buffer_store_dword v89, off, s[64:67], 0 offset:148 ; 4-byte Folded Spill
	v_add_f64 v[2:3], v[82:83], v[2:3]
	v_fma_f64 v[82:83], v[160:161], s[6:7], -v[213:214]
	v_add_f64 v[192:193], v[60:61], v[40:41]
	buffer_store_dword v90, off, s[64:67], 0 offset:320 ; 4-byte Folded Spill
	s_nop 0
	buffer_store_dword v91, off, s[64:67], 0 offset:324 ; 4-byte Folded Spill
	buffer_store_dword v84, off, s[64:67], 0 offset:224 ; 4-byte Folded Spill
	s_nop 0
	buffer_store_dword v85, off, s[64:67], 0 offset:228 ; 4-byte Folded Spill
	v_mul_f64 v[100:101], v[245:246], s[40:41]
	v_mul_f64 v[102:103], v[249:250], s[48:49]
	s_mov_b32 s51, 0x3fe58eea
	v_add_f64 v[2:3], v[82:83], v[2:3]
	s_mov_b32 s50, s28
	v_mul_f64 v[247:248], v[243:244], s[42:43]
	v_add_f64 v[194:195], v[62:63], v[42:43]
	s_mov_b32 s22, 0x910ea3b9
	s_mov_b32 s23, 0xbfeb34fa
	v_add_f64 v[253:254], v[18:19], -v[38:39]
	v_add_f64 v[251:252], v[16:17], -v[36:37]
	v_add_f64 v[204:205], v[16:17], v[36:37]
	s_mov_b32 s55, 0xbfe0d888
	v_fma_f64 v[82:83], v[174:175], s[24:25], v[247:248]
	v_fma_f64 v[80:81], v[160:161], s[20:21], -v[86:87]
	s_mov_b32 s54, s48
	v_add_f64 v[206:207], v[18:19], v[38:39]
	v_mul_f64 v[108:109], v[253:254], s[26:27]
	v_mul_f64 v[110:111], v[251:252], s[26:27]
	v_add_f64 v[218:219], v[20:21], v[32:33]
	s_mov_b32 s57, 0x3feca52d
	v_add_f64 v[4:5], v[82:83], v[4:5]
	v_add_f64 v[6:7], v[80:81], v[6:7]
	v_fma_f64 v[80:81], v[174:175], s[10:11], v[235:236]
	s_mov_b32 s56, s30
	v_add_f64 v[221:222], v[22:23], v[34:35]
	v_add_f64 v[130:131], v[26:27], -v[30:31]
	v_add_f64 v[124:125], v[24:25], -v[28:29]
	s_mov_b32 s53, 0x3fd71e95
	s_mov_b32 s52, s26
	v_add_f64 v[231:232], v[24:25], v[28:29]
	v_add_f64 v[0:1], v[80:81], v[0:1]
	v_fma_f64 v[80:81], v[180:181], s[10:11], -v[239:240]
	v_add_f64 v[233:234], v[26:27], v[30:31]
	v_mul_f64 v[106:107], v[170:171], s[34:35]
	v_mul_f64 v[112:113], v[168:169], s[34:35]
	v_mul_f64 v[126:127], v[202:203], s[42:43]
	v_mul_f64 v[118:119], v[237:238], s[46:47]
	v_mul_f64 v[132:133], v[227:228], s[46:47]
	v_mul_f64 v[114:115], v[243:244], s[52:53]
	v_add_f64 v[2:3], v[80:81], v[2:3]
	v_mul_f64 v[128:129], v[241:242], s[52:53]
	v_mul_f64 v[120:121], v[249:250], s[30:31]
	;; [unrolled: 1-line block ×4, first 2 shown]
	s_mov_b32 s61, 0x3fe9895b
	s_mov_b32 s60, s36
	v_mul_f64 v[144:145], v[124:125], s[50:51]
	v_mul_f64 v[146:147], v[170:171], s[40:41]
	;; [unrolled: 1-line block ×11, first 2 shown]
	s_mov_b32 s59, 0x3fefdd0d
	s_mov_b32 s58, s34
	v_mul_f64 v[158:159], v[253:254], s[58:59]
	v_mul_f64 v[184:185], v[251:252], s[58:59]
	;; [unrolled: 1-line block ×4, first 2 shown]
	v_fma_f64 v[86:87], v[156:157], s[24:25], v[88:89]
	v_fma_f64 v[88:89], v[160:161], s[24:25], -v[90:91]
	v_mul_f64 v[90:91], v[249:250], s[40:41]
	v_fma_f64 v[84:85], v[180:181], s[24:25], -v[84:85]
	v_add_f64 v[8:9], v[86:87], v[8:9]
	v_mul_f64 v[86:87], v[243:244], s[46:47]
	buffer_store_dword v86, off, s[64:67], 0 offset:328 ; 4-byte Folded Spill
	s_nop 0
	buffer_store_dword v87, off, s[64:67], 0 offset:332 ; 4-byte Folded Spill
	v_add_f64 v[10:11], v[88:89], v[10:11]
	v_mul_f64 v[88:89], v[241:242], s[46:47]
	buffer_store_dword v88, off, s[64:67], 0 offset:376 ; 4-byte Folded Spill
	s_nop 0
	buffer_store_dword v89, off, s[64:67], 0 offset:380 ; 4-byte Folded Spill
	buffer_store_dword v90, off, s[64:67], 0 offset:64 ; 4-byte Folded Spill
	s_nop 0
	buffer_store_dword v91, off, s[64:67], 0 offset:68 ; 4-byte Folded Spill
	;; [unrolled: 3-line block ×4, first 2 shown]
	v_add_f64 v[6:7], v[84:85], v[6:7]
	v_fma_f64 v[86:87], v[174:175], s[18:19], v[86:87]
	v_add_f64 v[8:9], v[86:87], v[8:9]
	v_mul_f64 v[86:87], v[245:246], s[48:49]
	v_fma_f64 v[88:89], v[180:181], s[18:19], -v[88:89]
	v_fma_f64 v[80:81], v[192:193], s[18:19], v[90:91]
	v_mul_f64 v[90:91], v[245:246], s[50:51]
	buffer_store_dword v86, off, s[64:67], 0 offset:264 ; 4-byte Folded Spill
	s_nop 0
	buffer_store_dword v87, off, s[64:67], 0 offset:268 ; 4-byte Folded Spill
	v_add_f64 v[10:11], v[88:89], v[10:11]
	v_mul_f64 v[88:89], v[249:250], s[50:51]
	buffer_store_dword v88, off, s[64:67], 0 offset:272 ; 4-byte Folded Spill
	s_nop 0
	buffer_store_dword v89, off, s[64:67], 0 offset:276 ; 4-byte Folded Spill
	buffer_store_dword v90, off, s[64:67], 0 offset:384 ; 4-byte Folded Spill
	s_nop 0
	buffer_store_dword v91, off, s[64:67], 0 offset:388 ; 4-byte Folded Spill
	v_fma_f64 v[82:83], v[194:195], s[18:19], -v[100:101]
	v_fma_f64 v[84:85], v[192:193], s[22:23], v[102:103]
	v_add_f64 v[0:1], v[80:81], v[0:1]
	v_mul_f64 v[100:101], v[251:252], s[46:47]
	v_add_f64 v[102:103], v[22:23], -v[34:35]
	v_add_f64 v[2:3], v[82:83], v[2:3]
	v_add_f64 v[4:5], v[84:85], v[4:5]
	v_mul_f64 v[162:163], v[102:103], s[26:27]
	v_fma_f64 v[80:81], v[194:195], s[22:23], -v[86:87]
	v_mul_f64 v[86:87], v[253:254], s[36:37]
	buffer_store_dword v86, off, s[64:67], 0 offset:160 ; 4-byte Folded Spill
	s_nop 0
	buffer_store_dword v87, off, s[64:67], 0 offset:164 ; 4-byte Folded Spill
	v_fma_f64 v[82:83], v[192:193], s[16:17], v[88:89]
	v_fma_f64 v[84:85], v[194:195], s[16:17], -v[90:91]
	v_mul_f64 v[88:89], v[251:252], s[36:37]
	v_mul_f64 v[90:91], v[253:254], s[46:47]
	buffer_store_dword v88, off, s[64:67], 0 offset:176 ; 4-byte Folded Spill
	s_nop 0
	buffer_store_dword v89, off, s[64:67], 0 offset:180 ; 4-byte Folded Spill
	buffer_store_dword v90, off, s[64:67], 0 offset:192 ; 4-byte Folded Spill
	s_nop 0
	buffer_store_dword v91, off, s[64:67], 0 offset:196 ; 4-byte Folded Spill
	;; [unrolled: 3-line block ×3, first 2 shown]
	v_add_f64 v[10:11], v[84:85], v[10:11]
	buffer_store_dword v108, off, s[64:67], 0 offset:296 ; 4-byte Folded Spill
	s_nop 0
	buffer_store_dword v109, off, s[64:67], 0 offset:300 ; 4-byte Folded Spill
	buffer_store_dword v110, off, s[64:67], 0 offset:424 ; 4-byte Folded Spill
	s_nop 0
	buffer_store_dword v111, off, s[64:67], 0 offset:428 ; 4-byte Folded Spill
	v_add_f64 v[6:7], v[80:81], v[6:7]
	v_add_f64 v[8:9], v[82:83], v[8:9]
	v_fma_f64 v[80:81], v[204:205], s[20:21], v[86:87]
	v_add_f64 v[0:1], v[80:81], v[0:1]
	v_fma_f64 v[82:83], v[206:207], s[20:21], -v[88:89]
	v_fma_f64 v[84:85], v[204:205], s[18:19], v[90:91]
	v_mul_f64 v[90:91], v[102:103], s[54:55]
	buffer_store_dword v90, off, s[64:67], 0 offset:232 ; 4-byte Folded Spill
	s_nop 0
	buffer_store_dword v91, off, s[64:67], 0 offset:236 ; 4-byte Folded Spill
	v_fma_f64 v[86:87], v[206:207], s[18:19], -v[100:101]
	v_add_f64 v[100:101], v[20:21], -v[32:33]
	v_fma_f64 v[88:89], v[204:205], s[4:5], v[108:109]
	v_add_f64 v[2:3], v[82:83], v[2:3]
	v_add_f64 v[4:5], v[84:85], v[4:5]
	v_fma_f64 v[80:81], v[206:207], s[4:5], -v[110:111]
	v_add_f64 v[6:7], v[86:87], v[6:7]
	v_mul_f64 v[108:109], v[100:101], s[54:55]
	v_add_f64 v[8:9], v[88:89], v[8:9]
	buffer_store_dword v108, off, s[64:67], 0 offset:248 ; 4-byte Folded Spill
	s_nop 0
	buffer_store_dword v109, off, s[64:67], 0 offset:252 ; 4-byte Folded Spill
	v_mul_f64 v[86:87], v[102:103], s[56:57]
	v_mul_f64 v[88:89], v[102:103], s[34:35]
	buffer_store_dword v86, off, s[64:67], 0 offset:280 ; 4-byte Folded Spill
	s_nop 0
	buffer_store_dword v87, off, s[64:67], 0 offset:284 ; 4-byte Folded Spill
	v_add_f64 v[10:11], v[80:81], v[10:11]
	v_mul_f64 v[110:111], v[100:101], s[34:35]
	v_mul_f64 v[142:143], v[100:101], s[60:61]
	;; [unrolled: 1-line block ×3, first 2 shown]
	v_fma_f64 v[82:83], v[218:219], s[22:23], v[90:91]
	v_mul_f64 v[90:91], v[100:101], s[56:57]
	buffer_store_dword v90, off, s[64:67], 0 offset:368 ; 4-byte Folded Spill
	s_nop 0
	buffer_store_dword v91, off, s[64:67], 0 offset:372 ; 4-byte Folded Spill
	buffer_store_dword v88, off, s[64:67], 0 offset:352 ; 4-byte Folded Spill
	s_nop 0
	buffer_store_dword v89, off, s[64:67], 0 offset:356 ; 4-byte Folded Spill
	v_add_f64 v[0:1], v[82:83], v[0:1]
	buffer_store_dword v110, off, s[64:67], 0 offset:440 ; 4-byte Folded Spill
	s_nop 0
	buffer_store_dword v111, off, s[64:67], 0 offset:444 ; 4-byte Folded Spill
	v_fma_f64 v[84:85], v[221:222], s[22:23], -v[108:109]
	v_mul_f64 v[108:109], v[124:125], s[52:53]
	v_add_f64 v[2:3], v[84:85], v[2:3]
	v_fma_f64 v[80:81], v[218:219], s[6:7], v[86:87]
	v_mul_f64 v[86:87], v[130:131], s[42:43]
	buffer_store_dword v86, off, s[64:67], 0 offset:336 ; 4-byte Folded Spill
	s_nop 0
	buffer_store_dword v87, off, s[64:67], 0 offset:340 ; 4-byte Folded Spill
	v_add_f64 v[4:5], v[80:81], v[4:5]
	v_fma_f64 v[82:83], v[221:222], s[6:7], -v[90:91]
	v_fma_f64 v[84:85], v[218:219], s[10:11], v[88:89]
	v_mul_f64 v[88:89], v[124:125], s[42:43]
	v_mul_f64 v[90:91], v[130:131], s[52:53]
	buffer_store_dword v88, off, s[64:67], 0 offset:344 ; 4-byte Folded Spill
	s_nop 0
	buffer_store_dword v89, off, s[64:67], 0 offset:348 ; 4-byte Folded Spill
	buffer_store_dword v90, off, s[64:67], 0 offset:360 ; 4-byte Folded Spill
	s_nop 0
	buffer_store_dword v91, off, s[64:67], 0 offset:364 ; 4-byte Folded Spill
	;; [unrolled: 3-line block ×3, first 2 shown]
	v_add_f64 v[6:7], v[82:83], v[6:7]
	v_add_f64 v[8:9], v[84:85], v[8:9]
	buffer_store_dword v106, off, s[64:67], 0 offset:128 ; 4-byte Folded Spill
	s_nop 0
	buffer_store_dword v107, off, s[64:67], 0 offset:132 ; 4-byte Folded Spill
	v_fma_f64 v[80:81], v[221:222], s[10:11], -v[110:111]
	v_mul_f64 v[110:111], v[253:254], s[54:55]
	v_add_f64 v[10:11], v[80:81], v[10:11]
	v_fma_f64 v[82:83], v[231:232], s[24:25], v[86:87]
	v_add_f64 v[198:199], v[82:83], v[0:1]
	v_fma_f64 v[84:85], v[233:234], s[24:25], -v[88:89]
	v_fma_f64 v[86:87], v[231:232], s[4:5], v[90:91]
	v_fma_f64 v[88:89], v[233:234], s[4:5], -v[108:109]
	v_mul_f64 v[108:109], v[124:125], s[54:55]
	v_mul_f64 v[90:91], v[130:131], s[54:55]
	v_fma_f64 v[80:81], v[116:117], s[10:11], v[106:107]
	v_mul_f64 v[106:107], v[130:131], s[50:51]
	v_add_f64 v[200:201], v[84:85], v[2:3]
	v_add_f64 v[0:1], v[86:87], v[4:5]
	;; [unrolled: 1-line block ×3, first 2 shown]
	buffer_store_dword v0, off, s[64:67], 0 ; 4-byte Folded Spill
	s_nop 0
	buffer_store_dword v1, off, s[64:67], 0 offset:4 ; 4-byte Folded Spill
	buffer_store_dword v2, off, s[64:67], 0 offset:8 ; 4-byte Folded Spill
	;; [unrolled: 1-line block ×4, first 2 shown]
	s_nop 0
	buffer_store_dword v91, off, s[64:67], 0 offset:412 ; 4-byte Folded Spill
	buffer_store_dword v108, off, s[64:67], 0 offset:416 ; 4-byte Folded Spill
	s_nop 0
	buffer_store_dword v109, off, s[64:67], 0 offset:420 ; 4-byte Folded Spill
	v_mul_f64 v[4:5], v[216:217], s[42:43]
	v_add_f64 v[80:81], v[12:13], v[80:81]
	v_fma_f64 v[88:89], v[140:141], s[22:23], -v[172:173]
	v_fma_f64 v[82:83], v[231:232], s[22:23], v[90:91]
	v_fma_f64 v[84:85], v[233:234], s[22:23], -v[108:109]
	v_mul_f64 v[108:109], v[102:103], s[60:61]
	v_add_f64 v[0:1], v[82:83], v[8:9]
	v_add_f64 v[2:3], v[84:85], v[10:11]
	v_fma_f64 v[82:83], v[136:137], s[24:25], v[4:5]
	v_fma_f64 v[84:85], v[122:123], s[10:11], -v[112:113]
	buffer_store_dword v0, off, s[64:67], 0 offset:16 ; 4-byte Folded Spill
	s_nop 0
	buffer_store_dword v1, off, s[64:67], 0 offset:20 ; 4-byte Folded Spill
	buffer_store_dword v2, off, s[64:67], 0 offset:24 ; 4-byte Folded Spill
	;; [unrolled: 1-line block ×3, first 2 shown]
	v_add_f64 v[80:81], v[82:83], v[80:81]
	v_add_f64 v[82:83], v[14:15], v[84:85]
	v_fma_f64 v[84:85], v[140:141], s[24:25], -v[126:127]
	s_waitcnt vmcnt(0)
	s_barrier
	v_add_f64 v[82:83], v[84:85], v[82:83]
	v_fma_f64 v[84:85], v[156:157], s[18:19], v[118:119]
	v_add_f64 v[80:81], v[84:85], v[80:81]
	v_fma_f64 v[84:85], v[160:161], s[18:19], -v[132:133]
	v_add_f64 v[82:83], v[84:85], v[82:83]
	v_fma_f64 v[84:85], v[174:175], s[4:5], v[114:115]
	v_add_f64 v[80:81], v[84:85], v[80:81]
	v_fma_f64 v[84:85], v[180:181], s[4:5], -v[128:129]
	;; [unrolled: 4-line block ×6, first 2 shown]
	v_add_f64 v[86:87], v[80:81], v[82:83]
	v_fma_f64 v[80:81], v[116:117], s[18:19], v[146:147]
	v_fma_f64 v[82:83], v[136:137], s[22:23], v[148:149]
	v_add_f64 v[80:81], v[12:13], v[80:81]
	v_add_f64 v[80:81], v[82:83], v[80:81]
	v_fma_f64 v[82:83], v[122:123], s[18:19], -v[166:167]
	v_add_f64 v[82:83], v[14:15], v[82:83]
	v_add_f64 v[82:83], v[88:89], v[82:83]
	v_fma_f64 v[88:89], v[156:157], s[16:17], v[152:153]
	v_add_f64 v[80:81], v[88:89], v[80:81]
	v_fma_f64 v[88:89], v[160:161], s[16:17], -v[178:179]
	v_add_f64 v[82:83], v[88:89], v[82:83]
	v_fma_f64 v[88:89], v[174:175], s[6:7], v[150:151]
	v_add_f64 v[80:81], v[88:89], v[80:81]
	v_fma_f64 v[88:89], v[180:181], s[6:7], -v[176:177]
	;; [unrolled: 4-line block ×6, first 2 shown]
	v_add_f64 v[90:91], v[80:81], v[82:83]
	s_and_saveexec_b64 s[38:39], s[0:1]
	s_cbranch_execz .LBB0_7
; %bb.6:
	buffer_store_dword v92, off, s[64:67], 0 offset:472 ; 4-byte Folded Spill
	s_nop 0
	buffer_store_dword v93, off, s[64:67], 0 offset:476 ; 4-byte Folded Spill
	v_mul_f64 v[92:93], v[122:123], s[24:25]
	buffer_store_dword v94, off, s[64:67], 0 offset:488 ; 4-byte Folded Spill
	s_nop 0
	buffer_store_dword v95, off, s[64:67], 0 offset:492 ; 4-byte Folded Spill
	v_mul_f64 v[94:95], v[140:141], s[4:5]
	;; [unrolled: 4-line block ×4, first 2 shown]
	buffer_store_dword v190, off, s[64:67], 0 offset:528 ; 4-byte Folded Spill
	s_nop 0
	buffer_store_dword v191, off, s[64:67], 0 offset:532 ; 4-byte Folded Spill
	v_fma_f64 v[80:81], v[168:169], s[44:45], v[92:93]
	buffer_store_dword v196, off, s[64:67], 0 offset:584 ; 4-byte Folded Spill
	s_nop 0
	buffer_store_dword v197, off, s[64:67], 0 offset:588 ; 4-byte Folded Spill
	v_fma_f64 v[82:83], v[202:203], s[26:27], v[94:95]
	v_mov_b32_e32 v11, v5
	v_mov_b32_e32 v10, v4
	;; [unrolled: 1-line block ×3, first 2 shown]
	v_fma_f64 v[190:191], v[136:137], s[4:5], v[98:99]
	v_mov_b32_e32 v3, v199
	v_add_f64 v[80:81], v[14:15], v[80:81]
	v_mov_b32_e32 v4, v200
	v_mov_b32_e32 v5, v201
	v_fma_f64 v[92:93], v[168:169], s[42:43], v[92:93]
	buffer_store_dword v209, off, s[64:67], 0 offset:536 ; 4-byte Folded Spill
	s_nop 0
	buffer_store_dword v210, off, s[64:67], 0 offset:540 ; 4-byte Folded Spill
	v_mov_b32_e32 v0, v208
	v_fma_f64 v[94:95], v[202:203], s[52:53], v[94:95]
	buffer_store_dword v213, off, s[64:67], 0 offset:552 ; 4-byte Folded Spill
	s_nop 0
	buffer_store_dword v214, off, s[64:67], 0 offset:556 ; 4-byte Folded Spill
	v_add_f64 v[80:81], v[82:83], v[80:81]
	v_fma_f64 v[82:83], v[116:117], s[24:25], v[96:97]
	v_mov_b32_e32 v1, v212
	v_add_f64 v[92:93], v[14:15], v[92:93]
	buffer_store_dword v223, off, s[64:67], 0 offset:600 ; 4-byte Folded Spill
	s_nop 0
	buffer_store_dword v224, off, s[64:67], 0 offset:604 ; 4-byte Folded Spill
	buffer_store_dword v225, off, s[64:67], 0 offset:576 ; 4-byte Folded Spill
	s_nop 0
	buffer_store_dword v226, off, s[64:67], 0 offset:580 ; 4-byte Folded Spill
	;; [unrolled: 3-line block ×5, first 2 shown]
	v_add_f64 v[82:83], v[12:13], v[82:83]
	v_mul_f64 v[235:236], v[233:234], s[10:11]
	v_add_f64 v[92:93], v[94:95], v[92:93]
	v_fma_f64 v[94:95], v[116:117], s[24:25], -v[96:97]
	v_fma_f64 v[96:97], v[136:137], s[4:5], -v[98:99]
	v_mul_f64 v[239:240], v[130:131], s[58:59]
	v_add_f64 v[72:73], v[12:13], v[72:73]
	v_add_f64 v[74:75], v[14:15], v[74:75]
	;; [unrolled: 1-line block ×3, first 2 shown]
	v_mul_f64 v[190:191], v[160:161], s[22:23]
	v_add_f64 v[94:95], v[12:13], v[94:95]
	v_fma_f64 v[98:99], v[231:232], s[10:11], -v[239:240]
	v_add_f64 v[76:77], v[72:73], v[76:77]
	v_add_f64 v[78:79], v[74:75], v[78:79]
	v_fma_f64 v[196:197], v[227:228], s[48:49], v[190:191]
	v_add_f64 v[94:95], v[96:97], v[94:95]
	v_fma_f64 v[96:97], v[227:228], s[54:55], v[190:191]
	v_mul_f64 v[190:191], v[122:123], s[22:23]
	v_add_f64 v[76:77], v[76:77], v[68:69]
	v_add_f64 v[78:79], v[78:79], v[70:71]
	;; [unrolled: 1-line block ×3, first 2 shown]
	v_mul_f64 v[196:197], v[237:238], s[54:55]
	v_add_f64 v[92:93], v[96:97], v[92:93]
	v_fma_f64 v[72:73], v[168:169], s[54:55], v[190:191]
	v_add_f64 v[76:77], v[76:77], v[64:65]
	v_add_f64 v[78:79], v[78:79], v[66:67]
	v_fma_f64 v[198:199], v[156:157], s[22:23], v[196:197]
	v_fma_f64 v[96:97], v[156:157], s[22:23], -v[196:197]
	v_mul_f64 v[196:197], v[140:141], s[6:7]
	v_add_f64 v[72:73], v[14:15], v[72:73]
	v_add_f64 v[76:77], v[76:77], v[60:61]
	;; [unrolled: 1-line block ×3, first 2 shown]
	v_mul_f64 v[78:79], v[122:123], s[18:19]
	v_mul_f64 v[60:61], v[160:161], s[16:17]
	v_add_f64 v[82:83], v[198:199], v[82:83]
	v_mul_f64 v[198:199], v[180:181], s[16:17]
	v_add_f64 v[94:95], v[96:97], v[94:95]
	v_fma_f64 v[74:75], v[202:203], s[56:57], v[196:197]
	v_add_f64 v[16:17], v[76:77], v[16:17]
	v_add_f64 v[18:19], v[62:63], v[18:19]
	;; [unrolled: 1-line block ×4, first 2 shown]
	v_mul_f64 v[166:167], v[206:207], s[18:19]
	v_fma_f64 v[200:201], v[241:242], s[28:29], v[198:199]
	v_fma_f64 v[96:97], v[241:242], s[50:51], v[198:199]
	v_mul_f64 v[198:199], v[160:161], s[10:11]
	v_add_f64 v[72:73], v[74:75], v[72:73]
	v_add_f64 v[16:17], v[16:17], v[20:21]
	;; [unrolled: 1-line block ×4, first 2 shown]
	v_mul_f64 v[178:179], v[231:232], s[4:5]
	v_add_f64 v[80:81], v[200:201], v[80:81]
	v_mul_f64 v[200:201], v[243:244], s[50:51]
	v_add_f64 v[92:93], v[96:97], v[92:93]
	v_fma_f64 v[74:75], v[227:228], s[34:35], v[198:199]
	v_add_f64 v[16:17], v[16:17], v[24:25]
	v_add_f64 v[18:19], v[18:19], v[26:27]
	v_fma_f64 v[208:209], v[174:175], s[16:17], v[200:201]
	v_fma_f64 v[96:97], v[174:175], s[16:17], -v[200:201]
	v_mul_f64 v[200:201], v[180:181], s[20:21]
	v_add_f64 v[72:73], v[74:75], v[72:73]
	v_add_f64 v[16:17], v[16:17], v[28:29]
	;; [unrolled: 1-line block ×4, first 2 shown]
	v_mul_f64 v[208:209], v[194:195], s[20:21]
	v_add_f64 v[94:95], v[96:97], v[94:95]
	v_fma_f64 v[74:75], v[241:242], s[60:61], v[200:201]
	v_add_f64 v[16:17], v[16:17], v[32:33]
	v_add_f64 v[18:19], v[18:19], v[34:35]
	v_fma_f64 v[210:211], v[245:246], s[60:61], v[208:209]
	v_fma_f64 v[96:97], v[245:246], s[36:37], v[208:209]
	v_mul_f64 v[208:209], v[194:195], s[4:5]
	v_add_f64 v[72:73], v[74:75], v[72:73]
	v_add_f64 v[18:19], v[18:19], v[38:39]
	;; [unrolled: 1-line block ×4, first 2 shown]
	v_mul_f64 v[210:211], v[249:250], s[36:37]
	v_add_f64 v[92:93], v[96:97], v[92:93]
	v_fma_f64 v[74:75], v[245:246], s[26:27], v[208:209]
	v_add_f64 v[18:19], v[18:19], v[42:43]
	v_add_f64 v[16:17], v[16:17], v[40:41]
	v_fma_f64 v[212:213], v[192:193], s[20:21], v[210:211]
	v_fma_f64 v[96:97], v[192:193], s[20:21], -v[210:211]
	v_mul_f64 v[210:211], v[206:207], s[24:25]
	v_add_f64 v[72:73], v[74:75], v[72:73]
	v_add_f64 v[18:19], v[18:19], v[46:47]
	;; [unrolled: 1-line block ×4, first 2 shown]
	v_mul_f64 v[212:213], v[206:207], s[6:7]
	v_add_f64 v[94:95], v[96:97], v[94:95]
	v_fma_f64 v[74:75], v[251:252], s[42:43], v[210:211]
	v_add_f64 v[18:19], v[18:19], v[50:51]
	v_add_f64 v[16:17], v[16:17], v[48:49]
	v_fma_f64 v[214:215], v[251:252], s[30:31], v[212:213]
	v_fma_f64 v[96:97], v[251:252], s[56:57], v[212:213]
	v_mul_f64 v[212:213], v[221:222], s[16:17]
	v_add_f64 v[72:73], v[74:75], v[72:73]
	v_add_f64 v[38:39], v[18:19], v[54:55]
	;; [unrolled: 1-line block ×4, first 2 shown]
	v_mul_f64 v[214:215], v[253:254], s[56:57]
	v_add_f64 v[92:93], v[96:97], v[92:93]
	v_fma_f64 v[74:75], v[100:101], s[50:51], v[212:213]
	v_fma_f64 v[223:224], v[204:205], s[6:7], v[214:215]
	v_add_f64 v[72:73], v[74:75], v[72:73]
	v_add_f64 v[82:83], v[223:224], v[82:83]
	v_mul_f64 v[223:224], v[221:222], s[18:19]
	v_fma_f64 v[225:226], v[100:101], s[46:47], v[223:224]
	v_fma_f64 v[96:97], v[100:101], s[40:41], v[223:224]
	v_mul_f64 v[223:224], v[216:217], s[56:57]
	v_add_f64 v[80:81], v[225:226], v[80:81]
	v_mul_f64 v[225:226], v[102:103], s[40:41]
	v_add_f64 v[92:93], v[96:97], v[92:93]
	v_fma_f64 v[96:97], v[204:205], s[6:7], -v[214:215]
	v_mul_f64 v[214:215], v[170:171], s[54:55]
	v_mul_f64 v[170:171], v[170:171], s[36:37]
	v_fma_f64 v[229:230], v[218:219], s[18:19], v[225:226]
	v_add_f64 v[94:95], v[96:97], v[94:95]
	v_fma_f64 v[96:97], v[218:219], s[18:19], -v[225:226]
	v_fma_f64 v[225:226], v[136:137], s[6:7], v[223:224]
	v_fma_f64 v[74:75], v[116:117], s[22:23], -v[214:215]
	v_add_f64 v[229:230], v[229:230], v[82:83]
	v_fma_f64 v[82:83], v[124:125], s[34:35], v[235:236]
	v_add_f64 v[96:97], v[96:97], v[94:95]
	v_fma_f64 v[94:95], v[124:125], s[58:59], v[235:236]
	v_add_f64 v[74:75], v[12:13], v[74:75]
	v_add_f64 v[8:9], v[82:83], v[80:81]
	v_fma_f64 v[80:81], v[231:232], s[10:11], v[239:240]
	v_mul_f64 v[82:83], v[102:103], s[50:51]
	v_add_f64 v[94:95], v[94:95], v[92:93]
	v_add_f64 v[92:93], v[98:99], v[96:97]
	v_fma_f64 v[96:97], v[168:169], s[48:49], v[190:191]
	v_fma_f64 v[98:99], v[202:203], s[30:31], v[196:197]
	v_mul_f64 v[190:191], v[180:181], s[22:23]
	v_mul_f64 v[196:197], v[194:195], s[10:11]
	v_add_f64 v[6:7], v[80:81], v[229:230]
	buffer_store_dword v6, off, s[64:67], 0 offset:456 ; 4-byte Folded Spill
	s_nop 0
	buffer_store_dword v7, off, s[64:67], 0 offset:460 ; 4-byte Folded Spill
	buffer_store_dword v8, off, s[64:67], 0 offset:464 ; 4-byte Folded Spill
	buffer_store_dword v9, off, s[64:67], 0 offset:468 ; 4-byte Folded Spill
	v_add_f64 v[96:97], v[14:15], v[96:97]
	v_mov_b32_e32 v8, v247
	v_mov_b32_e32 v9, v248
	v_mul_f64 v[247:248], v[233:234], s[18:19]
	v_mov_b32_e32 v6, v104
	v_mov_b32_e32 v7, v105
	v_mul_f64 v[104:105], v[130:131], s[40:41]
	v_mul_f64 v[102:103], v[102:103], s[42:43]
	v_add_f64 v[96:97], v[98:99], v[96:97]
	v_fma_f64 v[98:99], v[227:228], s[58:59], v[198:199]
	v_mul_f64 v[198:199], v[206:207], s[16:17]
	v_mul_f64 v[130:131], v[130:131], s[56:57]
	v_add_f64 v[96:97], v[98:99], v[96:97]
	v_fma_f64 v[98:99], v[241:242], s[36:37], v[200:201]
	v_mul_f64 v[200:201], v[221:222], s[24:25]
	v_add_f64 v[96:97], v[98:99], v[96:97]
	v_fma_f64 v[98:99], v[245:246], s[52:53], v[208:209]
	;; [unrolled: 3-line block ×3, first 2 shown]
	v_fma_f64 v[210:211], v[136:137], s[18:19], v[208:209]
	v_add_f64 v[96:97], v[98:99], v[96:97]
	v_fma_f64 v[98:99], v[100:101], s[28:29], v[212:213]
	v_add_f64 v[96:97], v[98:99], v[96:97]
	;; [unrolled: 2-line block ×3, first 2 shown]
	v_add_f64 v[98:99], v[225:226], v[98:99]
	v_mul_f64 v[225:226], v[237:238], s[34:35]
	v_fma_f64 v[229:230], v[156:157], s[10:11], v[225:226]
	v_add_f64 v[98:99], v[229:230], v[98:99]
	v_mul_f64 v[229:230], v[243:244], s[60:61]
	v_fma_f64 v[235:236], v[174:175], s[20:21], v[229:230]
	;; [unrolled: 3-line block ×4, first 2 shown]
	v_add_f64 v[80:81], v[80:81], v[98:99]
	v_fma_f64 v[98:99], v[218:219], s[16:17], v[82:83]
	v_add_f64 v[80:81], v[98:99], v[80:81]
	v_fma_f64 v[98:99], v[124:125], s[46:47], v[247:248]
	;; [unrolled: 2-line block ×3, first 2 shown]
	v_add_f64 v[96:97], v[96:97], v[80:81]
	v_fma_f64 v[80:81], v[136:137], s[6:7], -v[223:224]
	v_add_f64 v[74:75], v[80:81], v[74:75]
	v_fma_f64 v[80:81], v[156:157], s[10:11], -v[225:226]
	v_mul_f64 v[225:226], v[233:234], s[6:7]
	v_add_f64 v[74:75], v[80:81], v[74:75]
	v_fma_f64 v[80:81], v[174:175], s[20:21], -v[229:230]
	v_add_f64 v[74:75], v[80:81], v[74:75]
	v_fma_f64 v[80:81], v[192:193], s[4:5], -v[235:236]
	;; [unrolled: 2-line block ×4, first 2 shown]
	v_fma_f64 v[82:83], v[231:232], s[18:19], -v[104:105]
	v_mul_f64 v[104:105], v[160:161], s[4:5]
	v_add_f64 v[80:81], v[80:81], v[74:75]
	v_fma_f64 v[74:75], v[124:125], s[40:41], v[247:248]
	v_fma_f64 v[66:67], v[227:228], s[26:27], v[104:105]
	v_add_f64 v[74:75], v[74:75], v[72:73]
	v_add_f64 v[72:73], v[82:83], v[80:81]
	v_mul_f64 v[80:81], v[122:123], s[20:21]
	v_mul_f64 v[82:83], v[140:141], s[18:19]
	v_fma_f64 v[68:69], v[168:169], s[60:61], v[80:81]
	v_fma_f64 v[70:71], v[202:203], s[40:41], v[82:83]
	;; [unrolled: 1-line block ×4, first 2 shown]
	v_fma_f64 v[82:83], v[136:137], s[18:19], -v[208:209]
	v_mov_b32_e32 v208, v0
	v_mul_f64 v[168:169], v[204:205], s[4:5]
	v_add_f64 v[68:69], v[14:15], v[68:69]
	v_add_f64 v[64:65], v[14:15], v[64:65]
	;; [unrolled: 1-line block ×3, first 2 shown]
	v_fma_f64 v[70:71], v[227:228], s[52:53], v[104:105]
	v_add_f64 v[64:65], v[80:81], v[64:65]
	v_fma_f64 v[80:81], v[241:242], s[54:55], v[190:191]
	v_mul_f64 v[104:105], v[140:141], s[24:25]
	v_add_f64 v[68:69], v[70:71], v[68:69]
	v_fma_f64 v[70:71], v[241:242], s[48:49], v[190:191]
	v_add_f64 v[64:65], v[66:67], v[64:65]
	v_fma_f64 v[66:67], v[245:246], s[58:59], v[196:197]
	v_add_f64 v[104:105], v[126:127], v[104:105]
	v_mul_f64 v[126:127], v[122:123], s[4:5]
	v_add_f64 v[68:69], v[70:71], v[68:69]
	v_fma_f64 v[70:71], v[245:246], s[34:35], v[196:197]
	v_add_f64 v[64:65], v[80:81], v[64:65]
	v_fma_f64 v[80:81], v[251:252], s[28:29], v[198:199]
	;; [unrolled: 2-line block ×6, first 2 shown]
	v_fma_f64 v[100:101], v[231:232], s[6:7], -v[130:131]
	v_mov_b32_e32 v201, v5
	v_mov_b32_e32 v200, v4
	;; [unrolled: 1-line block ×4, first 2 shown]
	v_add_f64 v[68:69], v[70:71], v[68:69]
	v_fma_f64 v[70:71], v[116:117], s[20:21], v[170:171]
	v_add_f64 v[64:65], v[66:67], v[64:65]
	v_fma_f64 v[66:67], v[116:117], s[20:21], -v[170:171]
	v_mul_f64 v[170:171], v[221:222], s[22:23]
	v_add_f64 v[70:71], v[12:13], v[70:71]
	v_add_f64 v[66:67], v[12:13], v[66:67]
	;; [unrolled: 1-line block ×3, first 2 shown]
	v_mul_f64 v[210:211], v[237:238], s[26:27]
	v_add_f64 v[66:67], v[82:83], v[66:67]
	v_fma_f64 v[212:213], v[156:157], s[4:5], v[210:211]
	v_fma_f64 v[82:83], v[156:157], s[4:5], -v[210:211]
	v_add_f64 v[70:71], v[212:213], v[70:71]
	v_mul_f64 v[212:213], v[243:244], s[54:55]
	v_add_f64 v[66:67], v[82:83], v[66:67]
	v_fma_f64 v[214:215], v[174:175], s[22:23], v[212:213]
	v_fma_f64 v[82:83], v[174:175], s[22:23], -v[212:213]
	v_mov_b32_e32 v212, v1
	buffer_load_dword v0, off, s[64:67], 0 offset:128 ; 4-byte Folded Reload
	buffer_load_dword v1, off, s[64:67], 0 offset:132 ; 4-byte Folded Reload
	v_add_f64 v[70:71], v[214:215], v[70:71]
	v_mul_f64 v[214:215], v[249:250], s[58:59]
	v_add_f64 v[66:67], v[82:83], v[66:67]
	v_fma_f64 v[216:217], v[192:193], s[10:11], v[214:215]
	v_fma_f64 v[82:83], v[192:193], s[10:11], -v[214:215]
	v_add_f64 v[70:71], v[216:217], v[70:71]
	v_mul_f64 v[216:217], v[253:254], s[28:29]
	v_add_f64 v[66:67], v[82:83], v[66:67]
	v_fma_f64 v[82:83], v[204:205], s[16:17], -v[216:217]
	v_fma_f64 v[223:224], v[204:205], s[16:17], v[216:217]
	v_add_f64 v[66:67], v[82:83], v[66:67]
	v_fma_f64 v[82:83], v[218:219], s[24:25], -v[102:103]
	v_add_f64 v[70:71], v[223:224], v[70:71]
	v_fma_f64 v[223:224], v[218:219], s[24:25], v[102:103]
	v_mul_f64 v[102:103], v[122:123], s[10:11]
	v_add_f64 v[82:83], v[82:83], v[66:67]
	v_add_f64 v[66:67], v[80:81], v[64:65]
	v_mul_f64 v[80:81], v[140:141], s[22:23]
	v_add_f64 v[102:103], v[112:113], v[102:103]
	v_mul_f64 v[112:113], v[116:117], s[10:11]
	v_add_f64 v[223:224], v[223:224], v[70:71]
	v_fma_f64 v[70:71], v[124:125], s[30:31], v[225:226]
	v_mul_f64 v[124:125], v[160:161], s[24:25]
	v_add_f64 v[64:65], v[100:101], v[82:83]
	v_mul_f64 v[82:83], v[116:117], s[18:19]
	v_add_f64 v[80:81], v[172:173], v[80:81]
	v_mul_f64 v[100:101], v[136:137], s[22:23]
	v_add_f64 v[102:103], v[14:15], v[102:103]
	v_mul_f64 v[172:173], v[221:222], s[6:7]
	v_add_f64 v[70:71], v[70:71], v[68:69]
	v_fma_f64 v[68:69], v[231:232], s[6:7], v[130:131]
	v_mul_f64 v[130:131], v[140:141], s[16:17]
	v_add_f64 v[82:83], v[82:83], -v[146:147]
	v_add_f64 v[78:79], v[80:81], v[78:79]
	v_mul_f64 v[80:81], v[180:181], s[6:7]
	v_add_f64 v[100:101], v[100:101], -v[148:149]
	v_add_f64 v[102:103], v[104:105], v[102:103]
	v_mul_f64 v[104:105], v[180:181], s[4:5]
	v_mul_f64 v[148:149], v[180:181], s[10:11]
	;; [unrolled: 1-line block ×3, first 2 shown]
	v_add_f64 v[82:83], v[12:13], v[82:83]
	v_add_f64 v[60:61], v[60:61], v[78:79]
	;; [unrolled: 1-line block ×3, first 2 shown]
	v_mul_f64 v[78:79], v[194:195], s[24:25]
	v_mul_f64 v[176:177], v[231:232], s[24:25]
	v_add_f64 v[104:105], v[128:129], v[104:105]
	v_mul_f64 v[128:129], v[194:195], s[16:17]
	s_waitcnt vmcnt(0)
	v_add_f64 v[112:113], v[112:113], -v[0:1]
	v_add_f64 v[82:83], v[100:101], v[82:83]
	v_mul_f64 v[100:101], v[174:175], s[6:7]
	v_add_f64 v[60:61], v[80:81], v[60:61]
	v_add_f64 v[78:79], v[182:183], v[78:79]
	v_mul_f64 v[80:81], v[206:207], s[10:11]
	buffer_load_dword v0, off, s[64:67], 0 offset:48 ; 4-byte Folded Reload
	buffer_load_dword v1, off, s[64:67], 0 offset:52 ; 4-byte Folded Reload
	v_mul_f64 v[182:183], v[233:234], s[22:23]
	v_add_f64 v[112:113], v[12:13], v[112:113]
	v_add_f64 v[68:69], v[68:69], v[223:224]
	v_add_f64 v[100:101], v[100:101], -v[150:151]
	v_mul_f64 v[150:151], v[174:175], s[24:25]
	v_add_f64 v[60:61], v[78:79], v[60:61]
	v_add_f64 v[80:81], v[184:185], v[80:81]
	v_mul_f64 v[78:79], v[221:222], s[4:5]
	v_add_f64 v[32:33], v[150:151], -v[8:9]
	v_add_f64 v[60:61], v[80:81], v[60:61]
	v_add_f64 v[78:79], v[186:187], v[78:79]
	v_mul_f64 v[80:81], v[233:234], s[20:21]
	v_add_f64 v[60:61], v[78:79], v[60:61]
	v_mul_f64 v[78:79], v[156:157], s[16:17]
	v_add_f64 v[80:81], v[188:189], v[80:81]
	v_add_f64 v[78:79], v[78:79], -v[152:153]
	v_mul_f64 v[152:153], v[180:181], s[24:25]
	v_add_f64 v[60:61], v[80:81], v[60:61]
	v_add_f64 v[78:79], v[78:79], v[82:83]
	v_mul_f64 v[82:83], v[192:193], s[24:25]
	v_add_f64 v[78:79], v[100:101], v[78:79]
	v_add_f64 v[82:83], v[82:83], -v[154:155]
	v_mul_f64 v[100:101], v[204:205], s[10:11]
	v_mul_f64 v[154:155], v[192:193], s[18:19]
	v_add_f64 v[78:79], v[82:83], v[78:79]
	v_add_f64 v[100:101], v[100:101], -v[158:159]
	v_mul_f64 v[82:83], v[218:219], s[4:5]
	;; [unrolled: 4-line block ×3, first 2 shown]
	v_mul_f64 v[100:101], v[231:232], s[20:21]
	v_add_f64 v[82:83], v[82:83], v[78:79]
	v_mul_f64 v[78:79], v[160:161], s[18:19]
	v_add_f64 v[100:101], v[100:101], -v[164:165]
	v_mul_f64 v[164:165], v[206:207], s[20:21]
	v_add_f64 v[78:79], v[132:133], v[78:79]
	v_mul_f64 v[132:133], v[136:137], s[10:11]
	v_add_f64 v[78:79], v[78:79], v[102:103]
	v_mul_f64 v[102:103], v[194:195], s[6:7]
	v_add_f64 v[78:79], v[104:105], v[78:79]
	v_add_f64 v[102:103], v[134:135], v[102:103]
	v_mul_f64 v[104:105], v[206:207], s[22:23]
	v_mul_f64 v[134:135], v[140:141], s[10:11]
	v_add_f64 v[78:79], v[102:103], v[78:79]
	v_add_f64 v[104:105], v[138:139], v[104:105]
	v_mul_f64 v[102:103], v[221:222], s[20:21]
	v_mul_f64 v[138:139], v[156:157], s[6:7]
	v_add_f64 v[78:79], v[104:105], v[78:79]
	;; [unrolled: 4-line block ×3, first 2 shown]
	v_mul_f64 v[102:103], v[156:157], s[18:19]
	v_add_f64 v[104:105], v[144:145], v[104:105]
	v_mul_f64 v[144:145], v[156:157], s[24:25]
	v_add_f64 v[102:103], v[102:103], -v[118:119]
	v_mul_f64 v[118:119], v[136:137], s[24:25]
	v_add_f64 v[78:79], v[104:105], v[78:79]
	v_add_f64 v[118:119], v[118:119], -v[10:11]
	v_add_f64 v[112:113], v[118:119], v[112:113]
	v_mul_f64 v[118:119], v[174:175], s[4:5]
	v_add_f64 v[102:103], v[102:103], v[112:113]
	v_add_f64 v[114:115], v[118:119], -v[114:115]
	v_mul_f64 v[118:119], v[122:123], s[6:7]
	v_mul_f64 v[112:113], v[192:193], s[6:7]
	;; [unrolled: 1-line block ×3, first 2 shown]
	v_add_f64 v[102:103], v[114:115], v[102:103]
	s_waitcnt vmcnt(0)
	v_add_f64 v[118:119], v[0:1], v[118:119]
	buffer_load_dword v0, off, s[64:67], 0 offset:208 ; 4-byte Folded Reload
	buffer_load_dword v1, off, s[64:67], 0 offset:212 ; 4-byte Folded Reload
	v_add_f64 v[112:113], v[112:113], -v[120:121]
	v_mul_f64 v[120:121], v[140:141], s[20:21]
	v_mul_f64 v[114:115], v[204:205], s[22:23]
	;; [unrolled: 1-line block ×4, first 2 shown]
	v_add_f64 v[118:119], v[14:15], v[118:119]
	v_add_f64 v[102:103], v[112:113], v[102:103]
	v_mul_f64 v[112:113], v[116:117], s[4:5]
	v_add_f64 v[110:111], v[114:115], -v[110:111]
	v_mul_f64 v[114:115], v[218:219], s[20:21]
	v_add_f64 v[102:103], v[110:111], v[102:103]
	v_add_f64 v[108:109], v[114:115], -v[108:109]
	v_mul_f64 v[114:115], v[180:181], s[18:19]
	v_mul_f64 v[110:111], v[116:117], s[16:17]
	v_mul_f64 v[116:117], v[116:117], s[6:7]
	v_mul_f64 v[180:181], v[231:232], s[22:23]
	v_add_f64 v[102:103], v[108:109], v[102:103]
	v_mul_f64 v[108:109], v[206:207], s[4:5]
	s_waitcnt vmcnt(0)
	v_add_f64 v[120:121], v[0:1], v[120:121]
	buffer_load_dword v0, off, s[64:67], 0 offset:320 ; 4-byte Folded Reload
	buffer_load_dword v1, off, s[64:67], 0 offset:324 ; 4-byte Folded Reload
	v_add_f64 v[118:119], v[120:121], v[118:119]
	v_mul_f64 v[120:121], v[231:232], s[16:17]
	v_add_f64 v[106:107], v[120:121], -v[106:107]
	v_mul_f64 v[120:121], v[136:137], s[16:17]
	v_mul_f64 v[136:137], v[136:137], s[20:21]
	s_waitcnt vmcnt(0)
	v_add_f64 v[124:125], v[0:1], v[124:125]
	buffer_load_dword v0, off, s[64:67], 0 offset:376 ; 4-byte Folded Reload
	buffer_load_dword v1, off, s[64:67], 0 offset:380 ; 4-byte Folded Reload
	v_add_f64 v[118:119], v[124:125], v[118:119]
	v_mul_f64 v[124:125], v[221:222], s[10:11]
	s_waitcnt vmcnt(0)
	v_add_f64 v[114:115], v[0:1], v[114:115]
	buffer_load_dword v0, off, s[64:67], 0 offset:384 ; 4-byte Folded Reload
	buffer_load_dword v1, off, s[64:67], 0 offset:388 ; 4-byte Folded Reload
	v_add_f64 v[114:115], v[114:115], v[118:119]
	v_mul_f64 v[118:119], v[174:175], s[18:19]
	v_mul_f64 v[174:175], v[218:219], s[10:11]
	s_waitcnt vmcnt(0)
	v_add_f64 v[128:129], v[0:1], v[128:129]
	buffer_load_dword v0, off, s[64:67], 0 offset:440 ; 4-byte Folded Reload
	buffer_load_dword v1, off, s[64:67], 0 offset:444 ; 4-byte Folded Reload
	v_add_f64 v[114:115], v[128:129], v[114:115]
	v_mul_f64 v[128:129], v[160:161], s[6:7]
	v_mul_f64 v[160:161], v[194:195], s[22:23]
	s_waitcnt vmcnt(0)
	v_add_f64 v[124:125], v[0:1], v[124:125]
	buffer_load_dword v0, off, s[64:67], 0 offset:424 ; 4-byte Folded Reload
	buffer_load_dword v1, off, s[64:67], 0 offset:428 ; 4-byte Folded Reload
	s_waitcnt vmcnt(0)
	v_add_f64 v[108:109], v[0:1], v[108:109]
	buffer_load_dword v0, off, s[64:67], 0 offset:328 ; 4-byte Folded Reload
	buffer_load_dword v1, off, s[64:67], 0 offset:332 ; 4-byte Folded Reload
	v_add_f64 v[80:81], v[108:109], v[114:115]
	v_add_f64 v[80:81], v[124:125], v[80:81]
	s_waitcnt vmcnt(0)
	v_add_f64 v[118:119], v[118:119], -v[0:1]
	buffer_load_dword v0, off, s[64:67], 0 offset:600 ; 4-byte Folded Reload
	buffer_load_dword v1, off, s[64:67], 0 offset:604 ; 4-byte Folded Reload
	s_waitcnt vmcnt(0)
	v_add_f64 v[116:117], v[116:117], -v[0:1]
	buffer_load_dword v0, off, s[64:67], 0 offset:584 ; 4-byte Folded Reload
	buffer_load_dword v1, off, s[64:67], 0 offset:588 ; 4-byte Folded Reload
	v_add_f64 v[116:117], v[12:13], v[116:117]
	s_waitcnt vmcnt(0)
	v_add_f64 v[122:123], v[0:1], v[122:123]
	buffer_load_dword v0, off, s[64:67], 0 offset:32 ; 4-byte Folded Reload
	buffer_load_dword v1, off, s[64:67], 0 offset:36 ; 4-byte Folded Reload
	v_add_f64 v[122:123], v[14:15], v[122:123]
	s_waitcnt vmcnt(0)
	v_add_f64 v[136:137], v[136:137], -v[0:1]
	buffer_load_dword v0, off, s[64:67], 0 offset:144 ; 4-byte Folded Reload
	buffer_load_dword v1, off, s[64:67], 0 offset:148 ; 4-byte Folded Reload
	v_add_f64 v[116:117], v[136:137], v[116:117]
	v_mul_f64 v[136:137], v[204:205], s[20:21]
	s_waitcnt vmcnt(0)
	v_add_f64 v[144:145], v[144:145], -v[0:1]
	buffer_load_dword v0, off, s[64:67], 0 offset:592 ; 4-byte Folded Reload
	buffer_load_dword v1, off, s[64:67], 0 offset:596 ; 4-byte Folded Reload
	v_add_f64 v[116:117], v[144:145], v[116:117]
	v_mul_f64 v[144:145], v[218:219], s[22:23]
	v_add_f64 v[116:117], v[118:119], v[116:117]
	v_mul_f64 v[118:119], v[233:234], s[24:25]
	s_waitcnt vmcnt(0)
	v_add_f64 v[134:135], v[0:1], v[134:135]
	buffer_load_dword v0, off, s[64:67], 0 offset:112 ; 4-byte Folded Reload
	buffer_load_dword v1, off, s[64:67], 0 offset:116 ; 4-byte Folded Reload
	v_add_f64 v[122:123], v[134:135], v[122:123]
	v_mul_f64 v[134:135], v[204:205], s[18:19]
	s_waitcnt vmcnt(0)
	v_add_f64 v[142:143], v[0:1], v[142:143]
	buffer_load_dword v0, off, s[64:67], 0 offset:224 ; 4-byte Folded Reload
	buffer_load_dword v1, off, s[64:67], 0 offset:228 ; 4-byte Folded Reload
	;; [unrolled: 6-line block ×3, first 2 shown]
	v_add_f64 v[122:123], v[152:153], v[122:123]
	v_mul_f64 v[152:153], v[233:234], s[4:5]
	s_waitcnt vmcnt(0)
	v_add_f64 v[162:163], v[162:163], -v[0:1]
	buffer_load_dword v0, off, s[64:67], 0 offset:264 ; 4-byte Folded Reload
	buffer_load_dword v1, off, s[64:67], 0 offset:268 ; 4-byte Folded Reload
	v_add_f64 v[114:115], v[162:163], v[116:117]
	s_waitcnt vmcnt(0)
	v_add_f64 v[160:161], v[0:1], v[160:161]
	buffer_load_dword v0, off, s[64:67], 0 offset:312 ; 4-byte Folded Reload
	buffer_load_dword v1, off, s[64:67], 0 offset:316 ; 4-byte Folded Reload
	v_add_f64 v[108:109], v[160:161], v[122:123]
	s_waitcnt vmcnt(0)
	v_add_f64 v[104:105], v[0:1], v[166:167]
	;; [unrolled: 5-line block ×3, first 2 shown]
	buffer_load_dword v0, off, s[64:67], 0 offset:296 ; 4-byte Folded Reload
	buffer_load_dword v1, off, s[64:67], 0 offset:300 ; 4-byte Folded Reload
	s_waitcnt vmcnt(0)
	v_add_f64 v[76:77], v[168:169], -v[0:1]
	buffer_load_dword v0, off, s[64:67], 0 offset:368 ; 4-byte Folded Reload
	buffer_load_dword v1, off, s[64:67], 0 offset:372 ; 4-byte Folded Reload
	v_add_f64 v[22:23], v[76:77], v[114:115]
	s_waitcnt vmcnt(0)
	v_add_f64 v[116:117], v[0:1], v[172:173]
	buffer_load_dword v0, off, s[64:67], 0 offset:408 ; 4-byte Folded Reload
	buffer_load_dword v1, off, s[64:67], 0 offset:412 ; 4-byte Folded Reload
	v_add_f64 v[104:105], v[116:117], v[104:105]
	s_waitcnt vmcnt(0)
	v_add_f64 v[108:109], v[180:181], -v[0:1]
	buffer_load_dword v0, off, s[64:67], 0 offset:352 ; 4-byte Folded Reload
	buffer_load_dword v1, off, s[64:67], 0 offset:356 ; 4-byte Folded Reload
	s_waitcnt vmcnt(0)
	v_add_f64 v[20:21], v[174:175], -v[0:1]
	buffer_load_dword v0, off, s[64:67], 0 offset:392 ; 4-byte Folded Reload
	buffer_load_dword v1, off, s[64:67], 0 offset:396 ; 4-byte Folded Reload
	v_add_f64 v[40:41], v[20:21], v[22:23]
	s_waitcnt vmcnt(0)
	v_add_f64 v[76:77], v[0:1], v[152:153]
	buffer_load_dword v0, off, s[64:67], 0 offset:488 ; 4-byte Folded Reload
	buffer_load_dword v1, off, s[64:67], 0 offset:492 ; 4-byte Folded Reload
	v_add_f64 v[18:19], v[76:77], v[104:105]
	v_add_f64 v[76:77], v[106:107], v[102:103]
	s_waitcnt vmcnt(0)
	v_add_f64 v[114:115], v[0:1], v[126:127]
	buffer_load_dword v0, off, s[64:67], 0 offset:472 ; 4-byte Folded Reload
	buffer_load_dword v1, off, s[64:67], 0 offset:476 ; 4-byte Folded Reload
	v_add_f64 v[14:15], v[14:15], v[114:115]
	s_waitcnt vmcnt(0)
	v_add_f64 v[24:25], v[112:113], -v[0:1]
	buffer_load_dword v0, off, s[64:67], 0 offset:520 ; 4-byte Folded Reload
	buffer_load_dword v1, off, s[64:67], 0 offset:524 ; 4-byte Folded Reload
	v_add_f64 v[112:113], v[6:7], v[130:131]
	v_add_f64 v[24:25], v[12:13], v[24:25]
	;; [unrolled: 1-line block ×3, first 2 shown]
	s_waitcnt vmcnt(0)
	v_add_f64 v[26:27], v[110:111], -v[0:1]
	buffer_load_dword v0, off, s[64:67], 0 offset:528 ; 4-byte Folded Reload
	buffer_load_dword v1, off, s[64:67], 0 offset:532 ; 4-byte Folded Reload
	v_add_f64 v[12:13], v[12:13], v[26:27]
	s_waitcnt vmcnt(0)
	v_add_f64 v[110:111], v[132:133], -v[0:1]
	buffer_load_dword v0, off, s[64:67], 0 offset:504 ; 4-byte Folded Reload
	buffer_load_dword v1, off, s[64:67], 0 offset:508 ; 4-byte Folded Reload
	v_add_f64 v[12:13], v[110:111], v[12:13]
	;; [unrolled: 5-line block ×4, first 2 shown]
	v_add_f64 v[12:13], v[32:33], v[12:13]
	s_waitcnt vmcnt(0)
	v_add_f64 v[28:29], v[0:1], v[128:129]
	buffer_load_dword v0, off, s[64:67], 0 offset:536 ; 4-byte Folded Reload
	buffer_load_dword v1, off, s[64:67], 0 offset:540 ; 4-byte Folded Reload
	v_add_f64 v[14:15], v[28:29], v[14:15]
	s_waitcnt vmcnt(0)
	v_add_f64 v[30:31], v[138:139], -v[0:1]
	buffer_load_dword v0, off, s[64:67], 0 offset:568 ; 4-byte Folded Reload
	buffer_load_dword v1, off, s[64:67], 0 offset:572 ; 4-byte Folded Reload
	v_add_f64 v[24:25], v[30:31], v[24:25]
	s_waitcnt vmcnt(0)
	v_add_f64 v[34:35], v[0:1], v[148:149]
	buffer_load_dword v0, off, s[64:67], 0 offset:560 ; 4-byte Folded Reload
	buffer_load_dword v1, off, s[64:67], 0 offset:564 ; 4-byte Folded Reload
	v_add_f64 v[14:15], v[34:35], v[14:15]
	s_waitcnt vmcnt(0)
	v_add_f64 v[28:29], v[146:147], -v[0:1]
	buffer_load_dword v0, off, s[64:67], 0 offset:96 ; 4-byte Folded Reload
	buffer_load_dword v1, off, s[64:67], 0 offset:100 ; 4-byte Folded Reload
	v_add_f64 v[24:25], v[28:29], v[24:25]
	s_waitcnt vmcnt(0)
	v_add_f64 v[26:27], v[158:159], -v[0:1]
	buffer_load_dword v0, off, s[64:67], 0 offset:80 ; 4-byte Folded Reload
	buffer_load_dword v1, off, s[64:67], 0 offset:84 ; 4-byte Folded Reload
	v_add_f64 v[12:13], v[26:27], v[12:13]
	s_waitcnt vmcnt(0)
	v_add_f64 v[30:31], v[0:1], v[156:157]
	buffer_load_dword v0, off, s[64:67], 0 offset:64 ; 4-byte Folded Reload
	buffer_load_dword v1, off, s[64:67], 0 offset:68 ; 4-byte Folded Reload
	v_add_f64 v[14:15], v[30:31], v[14:15]
	s_waitcnt vmcnt(0)
	v_add_f64 v[34:35], v[154:155], -v[0:1]
	;; [unrolled: 15-line block ×3, first 2 shown]
	buffer_load_dword v0, off, s[64:67], 0 offset:280 ; 4-byte Folded Reload
	buffer_load_dword v1, off, s[64:67], 0 offset:284 ; 4-byte Folded Reload
	v_add_f64 v[24:25], v[30:31], v[24:25]
	s_waitcnt vmcnt(0)
	v_add_f64 v[26:27], v[142:143], -v[0:1]
	buffer_load_dword v0, off, s[64:67], 0 offset:248 ; 4-byte Folded Reload
	buffer_load_dword v1, off, s[64:67], 0 offset:252 ; 4-byte Folded Reload
	v_add_f64 v[12:13], v[26:27], v[12:13]
	v_add_f64 v[26:27], v[38:39], v[58:59]
	;; [unrolled: 1-line block ×3, first 2 shown]
	s_waitcnt vmcnt(0)
	v_add_f64 v[34:35], v[0:1], v[170:171]
	buffer_load_dword v0, off, s[64:67], 0 offset:232 ; 4-byte Folded Reload
	buffer_load_dword v1, off, s[64:67], 0 offset:236 ; 4-byte Folded Reload
	v_add_f64 v[34:35], v[34:35], v[14:15]
	v_add_f64 v[14:15], v[62:63], v[80:81]
	s_waitcnt vmcnt(0)
	v_add_f64 v[32:33], v[144:145], -v[0:1]
	buffer_load_dword v0, off, s[64:67], 0 offset:360 ; 4-byte Folded Reload
	buffer_load_dword v1, off, s[64:67], 0 offset:364 ; 4-byte Folded Reload
	v_add_f64 v[32:33], v[32:33], v[24:25]
	v_add_f64 v[24:25], v[16:17], v[56:57]
	s_waitcnt vmcnt(0)
	v_add_f64 v[28:29], v[178:179], -v[0:1]
	buffer_load_dword v0, off, s[64:67], 0 offset:344 ; 4-byte Folded Reload
	buffer_load_dword v1, off, s[64:67], 0 offset:348 ; 4-byte Folded Reload
	v_add_f64 v[16:17], v[28:29], v[12:13]
	v_add_f64 v[12:13], v[108:109], v[40:41]
	s_waitcnt vmcnt(0)
	v_add_f64 v[30:31], v[0:1], v[118:119]
	buffer_load_dword v0, off, s[64:67], 0 offset:336 ; 4-byte Folded Reload
	buffer_load_dword v1, off, s[64:67], 0 offset:340 ; 4-byte Folded Reload
	v_add_f64 v[22:23], v[30:31], v[34:35]
	s_waitcnt vmcnt(0)
	v_add_f64 v[36:37], v[176:177], -v[0:1]
	v_mul_lo_u16_e32 v0, 17, v212
	v_lshlrev_b32_e32 v0, 4, v0
	v_add_f64 v[20:21], v[36:37], v[32:33]
	ds_write_b128 v0, v[24:27]
	ds_write_b128 v0, v[20:23] offset:16
	ds_write_b128 v0, v[16:19] offset:32
	;; [unrolled: 1-line block ×8, first 2 shown]
	buffer_load_dword v1, off, s[64:67], 0 offset:456 ; 4-byte Folded Reload
	buffer_load_dword v2, off, s[64:67], 0 offset:460 ; 4-byte Folded Reload
	;; [unrolled: 1-line block ×4, first 2 shown]
	s_waitcnt vmcnt(0)
	ds_write_b128 v0, v[1:4] offset:144
	ds_write_b128 v0, v[96:99] offset:160
	;; [unrolled: 1-line block ×5, first 2 shown]
	buffer_load_dword v1, off, s[64:67], 0 offset:16 ; 4-byte Folded Reload
	buffer_load_dword v2, off, s[64:67], 0 offset:20 ; 4-byte Folded Reload
	;; [unrolled: 1-line block ×4, first 2 shown]
	s_waitcnt vmcnt(0)
	ds_write_b128 v0, v[1:4] offset:224
	buffer_load_dword v1, off, s[64:67], 0  ; 4-byte Folded Reload
	buffer_load_dword v2, off, s[64:67], 0 offset:4 ; 4-byte Folded Reload
	buffer_load_dword v3, off, s[64:67], 0 offset:8 ; 4-byte Folded Reload
	;; [unrolled: 1-line block ×3, first 2 shown]
	s_waitcnt vmcnt(0)
	ds_write_b128 v0, v[1:4] offset:240
	ds_write_b128 v0, v[198:201] offset:256
.LBB0_7:
	s_or_b64 exec, exec, s[38:39]
	s_movk_i32 s16, 0xf1
	v_mul_lo_u16_sdwa v4, v212, s16 dst_sel:DWORD dst_unused:UNUSED_PAD src0_sel:BYTE_0 src1_sel:DWORD
	v_add_u16_e32 v25, 0x77, v212
	s_load_dwordx4 s[4:7], s[2:3], 0x0
	s_movk_i32 s2, 0xee
	v_lshrrev_b16_e32 v4, 12, v4
	v_mul_lo_u16_sdwa v12, v25, s16 dst_sel:DWORD dst_unused:UNUSED_PAD src0_sel:BYTE_0 src1_sel:DWORD
	v_add_co_u32_e32 v0, vcc, s2, v212
	s_movk_i32 s2, 0x165
	v_mul_lo_u16_e32 v5, 17, v4
	v_lshrrev_b16_e32 v7, 12, v12
	v_add_co_u32_e32 v1, vcc, s2, v212
	s_movk_i32 s2, 0x1dc
	v_sub_u16_e32 v5, v212, v5
	v_mul_lo_u16_e32 v8, 17, v7
	v_add_co_u32_e32 v2, vcc, s2, v212
	s_movk_i32 s2, 0x253
	v_and_b32_e32 v5, 0xff, v5
	v_sub_u16_e32 v8, v25, v8
	v_add_co_u32_e32 v3, vcc, s2, v212
	v_lshlrev_b32_e32 v6, 4, v5
	v_and_b32_e32 v8, 0xff, v8
	s_mov_b32 s2, 0xf0f1
	s_waitcnt lgkmcnt(0)
	s_barrier
	v_lshlrev_b32_e32 v9, 4, v8
	global_load_dwordx4 v[54:57], v6, s[8:9]
	global_load_dwordx4 v[50:53], v9, s[8:9]
	v_mul_u32_u24_sdwa v6, v0, s2 dst_sel:DWORD dst_unused:UNUSED_PAD src0_sel:WORD_0 src1_sel:DWORD
	v_lshrrev_b32_e32 v6, 20, v6
	v_mul_u32_u24_sdwa v10, v1, s2 dst_sel:DWORD dst_unused:UNUSED_PAD src0_sel:WORD_0 src1_sel:DWORD
	v_mul_lo_u16_e32 v9, 17, v6
	v_lshrrev_b32_e32 v10, 20, v10
	v_sub_u16_e32 v0, v0, v9
	v_mul_lo_u16_e32 v11, 17, v10
	v_lshlrev_b32_e32 v9, 4, v0
	v_sub_u16_e32 v1, v1, v11
	v_lshlrev_b32_e32 v11, 4, v1
	global_load_dwordx4 v[44:47], v9, s[8:9]
	global_load_dwordx4 v[40:43], v11, s[8:9]
	v_mul_u32_u24_sdwa v9, v2, s2 dst_sel:DWORD dst_unused:UNUSED_PAD src0_sel:WORD_0 src1_sel:DWORD
	v_lshrrev_b32_e32 v9, 20, v9
	v_mul_u32_u24_sdwa v13, v3, s2 dst_sel:DWORD dst_unused:UNUSED_PAD src0_sel:WORD_0 src1_sel:DWORD
	v_mul_lo_u16_e32 v11, 17, v9
	v_lshrrev_b32_e32 v32, 20, v13
	v_sub_u16_e32 v2, v2, v11
	v_mul_lo_u16_e32 v13, 17, v32
	v_lshlrev_b32_e32 v11, 4, v2
	v_sub_u16_e32 v3, v3, v13
	global_load_dwordx4 v[118:121], v11, s[8:9]
	v_lshlrev_b32_e32 v11, 4, v3
	global_load_dwordx4 v[122:125], v11, s[8:9]
	v_mov_b32_e32 v11, 4
	v_lshlrev_b32_sdwa v220, v11, v212 dst_sel:DWORD dst_unused:UNUSED_PAD src0_sel:DWORD src1_sel:WORD_0
	ds_read_b128 v[13:16], v220
	ds_read_b128 v[17:20], v220 offset:1904
	ds_read_b128 v[21:24], v220 offset:11424
	ds_read_b128 v[26:29], v220 offset:13328
	ds_read_b128 v[36:39], v220 offset:3808
	ds_read_b128 v[60:63], v220 offset:5712
	ds_read_b128 v[64:67], v220 offset:15232
	ds_read_b128 v[68:71], v220 offset:17136
	ds_read_b128 v[72:75], v220 offset:7616
	ds_read_b128 v[76:79], v220 offset:9520
	ds_read_b128 v[80:83], v220 offset:19040
	ds_read_b128 v[92:95], v220 offset:20944
	v_mul_lo_u16_e32 v4, 34, v4
	v_and_b32_e32 v4, 0xfe, v4
	v_mad_legacy_u16 v0, v6, 34, v0
	s_movk_i32 s2, 0x55
	v_cmp_gt_u16_e64 s[2:3], s2, v212
	s_waitcnt vmcnt(5) lgkmcnt(9)
	v_mul_f64 v[30:31], v[23:24], v[56:57]
	s_waitcnt vmcnt(4) lgkmcnt(8)
	v_mul_f64 v[100:101], v[26:27], v[52:53]
	v_mul_f64 v[96:97], v[21:22], v[56:57]
	;; [unrolled: 1-line block ×3, first 2 shown]
	v_fma_f64 v[21:22], v[21:22], v[54:55], -v[30:31]
	v_fma_f64 v[28:29], v[28:29], v[50:51], v[100:101]
	v_fma_f64 v[23:24], v[23:24], v[54:55], v[96:97]
	s_waitcnt vmcnt(3) lgkmcnt(5)
	v_mul_f64 v[102:103], v[66:67], v[46:47]
	s_waitcnt vmcnt(2) lgkmcnt(4)
	v_mul_f64 v[106:107], v[70:71], v[42:43]
	v_mul_f64 v[104:105], v[64:65], v[46:47]
	v_mul_f64 v[108:109], v[68:69], v[42:43]
	v_fma_f64 v[26:27], v[26:27], v[50:51], -v[98:99]
	v_add_f64 v[21:22], v[13:14], -v[21:22]
	v_add_f64 v[28:29], v[19:20], -v[28:29]
	;; [unrolled: 1-line block ×3, first 2 shown]
	v_fma_f64 v[30:31], v[64:65], v[44:45], -v[102:103]
	buffer_store_dword v44, off, s[64:67], 0 offset:48 ; 4-byte Folded Spill
	s_nop 0
	buffer_store_dword v45, off, s[64:67], 0 offset:52 ; 4-byte Folded Spill
	buffer_store_dword v46, off, s[64:67], 0 offset:56 ; 4-byte Folded Spill
	;; [unrolled: 1-line block ×3, first 2 shown]
	v_fma_f64 v[68:69], v[68:69], v[40:41], -v[106:107]
	s_waitcnt vmcnt(5) lgkmcnt(1)
	v_mul_f64 v[110:111], v[82:83], v[120:121]
	v_mul_f64 v[112:113], v[80:81], v[120:121]
	s_waitcnt vmcnt(4) lgkmcnt(0)
	v_mul_f64 v[114:115], v[94:95], v[124:125]
	v_mul_f64 v[116:117], v[92:93], v[124:125]
	buffer_store_dword v40, off, s[64:67], 0 offset:32 ; 4-byte Folded Spill
	s_nop 0
	buffer_store_dword v41, off, s[64:67], 0 offset:36 ; 4-byte Folded Spill
	buffer_store_dword v42, off, s[64:67], 0 offset:40 ; 4-byte Folded Spill
	;; [unrolled: 1-line block ×3, first 2 shown]
	v_add_f64 v[26:27], v[17:18], -v[26:27]
	v_add_f64 v[64:65], v[36:37], -v[30:31]
	v_fma_f64 v[13:14], v[13:14], 2.0, -v[21:22]
	v_fma_f64 v[80:81], v[80:81], v[118:119], -v[110:111]
	buffer_store_dword v118, off, s[64:67], 0 offset:64 ; 4-byte Folded Spill
	s_nop 0
	buffer_store_dword v119, off, s[64:67], 0 offset:68 ; 4-byte Folded Spill
	buffer_store_dword v120, off, s[64:67], 0 offset:72 ; 4-byte Folded Spill
	;; [unrolled: 1-line block ×3, first 2 shown]
	v_fma_f64 v[100:101], v[92:93], v[122:123], -v[114:115]
	buffer_store_dword v122, off, s[64:67], 0 offset:80 ; 4-byte Folded Spill
	s_nop 0
	buffer_store_dword v123, off, s[64:67], 0 offset:84 ; 4-byte Folded Spill
	buffer_store_dword v124, off, s[64:67], 0 offset:88 ; 4-byte Folded Spill
	;; [unrolled: 1-line block ×3, first 2 shown]
	v_add_f64 v[92:93], v[60:61], -v[68:69]
	v_fma_f64 v[15:16], v[15:16], 2.0, -v[23:24]
	v_fma_f64 v[17:18], v[17:18], 2.0, -v[26:27]
	;; [unrolled: 1-line block ×3, first 2 shown]
	v_add_f64 v[96:97], v[72:73], -v[80:81]
	v_fma_f64 v[36:37], v[36:37], 2.0, -v[64:65]
	s_waitcnt vmcnt(0)
	s_barrier
	v_fma_f64 v[60:61], v[60:61], 2.0, -v[92:93]
	v_fma_f64 v[66:67], v[66:67], v[44:45], v[104:105]
	v_fma_f64 v[70:71], v[70:71], v[40:41], v[108:109]
	v_add_f64 v[108:109], v[76:77], -v[100:101]
	v_add_f64 v[66:67], v[38:39], -v[66:67]
	v_fma_f64 v[100:101], v[72:73], 2.0, -v[96:97]
	v_fma_f64 v[82:83], v[82:83], v[118:119], v[112:113]
	v_fma_f64 v[102:103], v[94:95], v[122:123], v[116:117]
	v_add_f64 v[94:95], v[62:63], -v[70:71]
	v_fma_f64 v[112:113], v[76:77], 2.0, -v[108:109]
	v_fma_f64 v[38:39], v[38:39], 2.0, -v[66:67]
	v_add_lshl_u32 v76, v4, v5, 4
	v_mul_u32_u24_e32 v4, 34, v7
	v_add_f64 v[98:99], v[74:75], -v[82:83]
	v_add_lshl_u32 v77, v4, v8, 4
	v_add_f64 v[110:111], v[78:79], -v[102:103]
	v_fma_f64 v[62:63], v[62:63], 2.0, -v[94:95]
	ds_write_b128 v76, v[13:16]
	ds_write_b128 v76, v[21:24] offset:272
	ds_write_b128 v77, v[17:20]
	ds_write_b128 v77, v[26:29] offset:272
	v_fma_f64 v[102:103], v[74:75], 2.0, -v[98:99]
	v_fma_f64 v[114:115], v[78:79], 2.0, -v[110:111]
	v_lshlrev_b32_e32 v78, 4, v0
	v_mad_legacy_u16 v0, v10, 34, v1
	ds_write_b128 v78, v[36:39]
	ds_write_b128 v78, v[64:67] offset:272
	v_lshlrev_b32_e32 v64, 4, v0
	v_mad_legacy_u16 v0, v9, 34, v2
	v_lshlrev_b32_e32 v24, 4, v0
	v_mad_legacy_u16 v0, v32, 34, v3
	v_lshlrev_b32_e32 v65, 4, v0
	ds_write_b128 v64, v[60:63]
	ds_write_b128 v64, v[92:95] offset:272
	ds_write_b128 v24, v[100:103]
	ds_write_b128 v24, v[96:99] offset:272
	;; [unrolled: 2-line block ×3, first 2 shown]
	s_waitcnt lgkmcnt(0)
	s_barrier
	ds_read_b128 v[104:107], v220
	ds_read_b128 v[132:135], v220 offset:3264
	ds_read_b128 v[128:131], v220 offset:6528
	;; [unrolled: 1-line block ×6, first 2 shown]
	s_and_saveexec_b64 s[10:11], s[2:3]
	s_cbranch_execz .LBB0_9
; %bb.8:
	ds_read_b128 v[92:95], v220 offset:1904
	ds_read_b128 v[100:103], v220 offset:5168
	;; [unrolled: 1-line block ×7, first 2 shown]
.LBB0_9:
	s_or_b64 exec, exec, s[10:11]
	v_lshrrev_b16_e32 v0, 13, v12
	buffer_store_dword v0, off, s[64:67], 0 offset:224 ; 4-byte Folded Spill
	v_mul_lo_u16_e32 v0, 34, v0
	v_sub_u16_e32 v0, v25, v0
	v_and_b32_e32 v67, 0xff, v0
	v_mul_lo_u16_sdwa v0, v212, s16 dst_sel:DWORD dst_unused:UNUSED_PAD src0_sel:BYTE_0 src1_sel:DWORD
	v_mov_b32_e32 v14, s9
	v_lshrrev_b16_e32 v0, 13, v0
	s_movk_i32 s17, 0x60
	v_mov_b32_e32 v13, s8
	v_mul_lo_u16_e32 v1, 34, v0
	v_mad_u64_u32 v[15:16], s[10:11], v67, s17, v[13:14]
	v_sub_u16_e32 v1, v212, v1
	v_and_b32_e32 v1, 0xff, v1
	v_mad_u64_u32 v[12:13], s[10:11], v1, s17, v[13:14]
	global_load_dwordx4 v[2:5], v[15:16], off offset:288
	global_load_dwordx4 v[213:216], v[15:16], off offset:272
	;; [unrolled: 1-line block ×12, first 2 shown]
	s_mov_b32 s18, 0x37e14327
	s_mov_b32 s10, 0x36b3c0b5
	;; [unrolled: 1-line block ×20, first 2 shown]
	v_mul_u32_u24_e32 v0, 0xee, v0
	v_add_lshl_u32 v209, v0, v1, 4
	s_waitcnt vmcnt(7) lgkmcnt(1)
	v_mul_f64 v[30:31], v[90:91], v[34:35]
	v_mul_f64 v[36:37], v[88:89], v[34:35]
	s_waitcnt vmcnt(6) lgkmcnt(0)
	v_mul_f64 v[38:39], v[86:87], v[8:9]
	s_waitcnt vmcnt(4)
	v_mul_f64 v[146:147], v[130:131], v[172:173]
	v_mul_f64 v[16:17], v[98:99], v[4:5]
	;; [unrolled: 1-line block ×5, first 2 shown]
	s_waitcnt vmcnt(3)
	v_mul_f64 v[150:151], v[122:123], v[46:47]
	s_waitcnt vmcnt(1)
	v_mul_f64 v[158:159], v[126:127], v[60:61]
	;; [unrolled: 2-line block ×3, first 2 shown]
	v_mul_f64 v[14:15], v[100:101], v[215:216]
	v_mul_f64 v[18:19], v[96:97], v[4:5]
	;; [unrolled: 1-line block ×9, first 2 shown]
	v_fma_f64 v[12:13], v[100:101], v[213:214], -v[12:13]
	v_fma_f64 v[16:17], v[96:97], v[2:3], -v[16:17]
	buffer_store_dword v2, off, s[64:67], 0 offset:176 ; 4-byte Folded Spill
	s_nop 0
	buffer_store_dword v3, off, s[64:67], 0 offset:180 ; 4-byte Folded Spill
	buffer_store_dword v4, off, s[64:67], 0 offset:184 ; 4-byte Folded Spill
	;; [unrolled: 1-line block ×3, first 2 shown]
	v_fma_f64 v[20:21], v[112:113], v[72:73], -v[20:21]
	v_fma_f64 v[26:27], v[108:109], v[68:69], -v[26:27]
	;; [unrolled: 1-line block ×3, first 2 shown]
	buffer_store_dword v32, off, s[64:67], 0 offset:208 ; 4-byte Folded Spill
	s_nop 0
	buffer_store_dword v33, off, s[64:67], 0 offset:212 ; 4-byte Folded Spill
	buffer_store_dword v34, off, s[64:67], 0 offset:216 ; 4-byte Folded Spill
	buffer_store_dword v35, off, s[64:67], 0 offset:220 ; 4-byte Folded Spill
	v_fma_f64 v[96:97], v[128:129], v[170:171], -v[146:147]
	buffer_store_dword v170, off, s[64:67], 0 offset:160 ; 4-byte Folded Spill
	s_nop 0
	buffer_store_dword v171, off, s[64:67], 0 offset:164 ; 4-byte Folded Spill
	buffer_store_dword v172, off, s[64:67], 0 offset:168 ; 4-byte Folded Spill
	buffer_store_dword v173, off, s[64:67], 0 offset:172 ; 4-byte Folded Spill
	v_fma_f64 v[100:101], v[136:137], v[166:167], -v[162:163]
	;; [unrolled: 6-line block ×4, first 2 shown]
	buffer_store_dword v58, off, s[64:67], 0 offset:128 ; 4-byte Folded Spill
	s_nop 0
	buffer_store_dword v59, off, s[64:67], 0 offset:132 ; 4-byte Folded Spill
	buffer_store_dword v60, off, s[64:67], 0 offset:136 ; 4-byte Folded Spill
	;; [unrolled: 1-line block ×3, first 2 shown]
	v_mul_f64 v[156:157], v[116:117], v[42:43]
	v_fma_f64 v[116:117], v[116:117], v[40:41], -v[154:155]
	buffer_store_dword v40, off, s[64:67], 0 offset:96 ; 4-byte Folded Spill
	s_nop 0
	buffer_store_dword v41, off, s[64:67], 0 offset:100 ; 4-byte Folded Spill
	buffer_store_dword v42, off, s[64:67], 0 offset:104 ; 4-byte Folded Spill
	;; [unrolled: 1-line block ×3, first 2 shown]
	v_mul_f64 v[140:141], v[84:85], v[8:9]
	v_fma_f64 v[38:39], v[84:85], v[6:7], -v[38:39]
	buffer_store_dword v6, off, s[64:67], 0 offset:192 ; 4-byte Folded Spill
	s_nop 0
	buffer_store_dword v7, off, s[64:67], 0 offset:196 ; 4-byte Folded Spill
	buffer_store_dword v8, off, s[64:67], 0 offset:200 ; 4-byte Folded Spill
	;; [unrolled: 1-line block ×3, first 2 shown]
	v_mul_f64 v[142:143], v[134:135], v[82:83]
	v_mul_f64 v[144:145], v[132:133], v[82:83]
	v_fma_f64 v[14:15], v[102:103], v[213:214], v[14:15]
	v_fma_f64 v[22:23], v[114:115], v[72:73], v[22:23]
	;; [unrolled: 1-line block ×3, first 2 shown]
	s_waitcnt vmcnt(0)
	s_barrier
	v_fma_f64 v[88:89], v[132:133], v[80:81], -v[142:143]
	v_add_f64 v[120:121], v[88:89], v[100:101]
	v_add_f64 v[88:89], v[88:89], -v[100:101]
	v_add_f64 v[100:101], v[96:97], v[112:113]
	v_add_f64 v[96:97], v[96:97], -v[112:113]
	;; [unrolled: 2-line block ×4, first 2 shown]
	v_add_f64 v[120:121], v[120:121], -v[112:113]
	v_add_f64 v[100:101], v[112:113], -v[100:101]
	v_add_f64 v[128:129], v[108:109], v[96:97]
	v_add_f64 v[132:133], v[108:109], -v[96:97]
	v_add_f64 v[96:97], v[96:97], -v[88:89]
	v_add_f64 v[108:109], v[88:89], -v[108:109]
	v_add_f64 v[112:113], v[112:113], v[116:117]
	v_mul_f64 v[120:121], v[120:121], s[18:19]
	v_add_f64 v[88:89], v[128:129], v[88:89]
	v_mul_f64 v[128:129], v[100:101], s[10:11]
	v_mul_f64 v[132:133], v[132:133], s[20:21]
	;; [unrolled: 1-line block ×3, first 2 shown]
	v_add_f64 v[116:117], v[104:105], v[112:113]
	v_fma_f64 v[100:101], v[100:101], s[10:11], v[120:121]
	v_fma_f64 v[120:121], v[124:125], s[26:27], -v[120:121]
	v_fma_f64 v[104:105], v[124:125], s[16:17], -v[128:129]
	v_fma_f64 v[124:125], v[108:109], s[30:31], v[132:133]
	v_fma_f64 v[96:97], v[96:97], s[22:23], -v[132:133]
	v_fma_f64 v[112:113], v[112:113], s[24:25], v[116:117]
	;; [unrolled: 2-line block ×3, first 2 shown]
	v_fma_f64 v[18:19], v[98:99], v[2:3], v[18:19]
	v_add_f64 v[128:129], v[100:101], v[112:113]
	v_add_f64 v[100:101], v[104:105], v[112:113]
	v_fma_f64 v[150:151], v[88:89], s[28:29], v[108:109]
	v_fma_f64 v[36:37], v[90:91], v[32:33], v[36:37]
	;; [unrolled: 1-line block ×6, first 2 shown]
	v_add_f64 v[96:97], v[22:23], v[28:29]
	v_fma_f64 v[110:111], v[122:123], v[44:45], v[152:153]
	v_add_f64 v[22:23], v[28:29], -v[22:23]
	v_fma_f64 v[114:115], v[126:127], v[58:59], v[160:161]
	v_add_f64 v[144:145], v[120:121], v[112:113]
	v_fma_f64 v[118:119], v[118:119], v[40:41], v[156:157]
	v_add_f64 v[122:123], v[90:91], v[102:103]
	v_add_f64 v[90:91], v[90:91], -v[102:103]
	v_fma_f64 v[84:85], v[86:87], v[6:7], v[140:141]
	v_add_f64 v[86:87], v[12:13], v[38:39]
	v_add_f64 v[102:103], v[98:99], v[114:115]
	v_add_f64 v[98:99], v[98:99], -v[114:115]
	v_add_f64 v[12:13], v[12:13], -v[38:39]
	v_add_f64 v[114:115], v[110:111], v[118:119]
	v_add_f64 v[110:111], v[118:119], -v[110:111]
	v_add_f64 v[38:39], v[14:15], -v[84:85]
	;; [unrolled: 3-line block ×3, first 2 shown]
	v_add_f64 v[102:103], v[114:115], -v[102:103]
	v_add_f64 v[130:131], v[110:111], v[98:99]
	v_add_f64 v[134:135], v[110:111], -v[98:99]
	v_add_f64 v[98:99], v[98:99], -v[90:91]
	v_add_f64 v[114:115], v[114:115], v[118:119]
	v_add_f64 v[110:111], v[90:91], -v[110:111]
	v_mul_f64 v[122:123], v[122:123], s[18:19]
	v_add_f64 v[90:91], v[130:131], v[90:91]
	v_mul_f64 v[130:131], v[102:103], s[10:11]
	v_mul_f64 v[134:135], v[134:135], s[20:21]
	;; [unrolled: 1-line block ×3, first 2 shown]
	v_add_f64 v[118:119], v[106:107], v[114:115]
	v_fma_f64 v[102:103], v[102:103], s[10:11], v[122:123]
	v_fma_f64 v[122:123], v[126:127], s[26:27], -v[122:123]
	v_fma_f64 v[106:107], v[126:127], s[16:17], -v[130:131]
	v_fma_f64 v[126:127], v[110:111], s[30:31], v[134:135]
	v_fma_f64 v[98:99], v[98:99], s[22:23], -v[134:135]
	v_fma_f64 v[114:115], v[114:115], s[24:25], v[118:119]
	;; [unrolled: 2-line block ×3, first 2 shown]
	v_add_f64 v[130:131], v[102:103], v[114:115]
	v_add_f64 v[102:103], v[106:107], v[114:115]
	v_fma_f64 v[148:149], v[90:91], s[28:29], v[110:111]
	v_fma_f64 v[90:91], v[90:91], s[28:29], v[98:99]
	v_add_f64 v[146:147], v[122:123], v[114:115]
	v_add_f64 v[120:121], v[126:127], v[128:129]
	v_add_f64 v[122:123], v[130:131], -v[124:125]
	v_add_f64 v[138:139], v[88:89], v[102:103]
	v_add_f64 v[142:143], v[102:103], -v[88:89]
	v_add_f64 v[136:137], v[100:101], -v[90:91]
	v_add_f64 v[140:141], v[90:91], v[100:101]
	v_add_f64 v[88:89], v[14:15], v[84:85]
	;; [unrolled: 1-line block ×4, first 2 shown]
	v_add_f64 v[16:17], v[16:17], -v[30:31]
	v_add_f64 v[30:31], v[18:19], -v[36:37]
	v_add_f64 v[36:37], v[20:21], v[26:27]
	v_add_f64 v[26:27], v[26:27], -v[20:21]
	v_add_f64 v[132:133], v[148:149], v[144:145]
	;; [unrolled: 2-line block ×3, first 2 shown]
	v_add_f64 v[98:99], v[90:91], v[88:89]
	v_add_f64 v[14:15], v[84:85], -v[86:87]
	v_add_f64 v[18:19], v[90:91], -v[88:89]
	;; [unrolled: 1-line block ×5, first 2 shown]
	v_add_f64 v[84:85], v[26:27], v[16:17]
	v_add_f64 v[86:87], v[22:23], v[30:31]
	v_add_f64 v[90:91], v[26:27], -v[16:17]
	v_add_f64 v[108:109], v[22:23], -v[30:31]
	v_add_f64 v[28:29], v[36:37], v[28:29]
	v_add_f64 v[36:37], v[96:97], v[98:99]
	v_add_f64 v[16:17], v[16:17], -v[12:13]
	v_add_f64 v[30:31], v[30:31], -v[38:39]
	;; [unrolled: 1-line block ×4, first 2 shown]
	v_add_f64 v[102:103], v[84:85], v[12:13]
	v_add_f64 v[104:105], v[86:87], v[38:39]
	;; [unrolled: 1-line block ×4, first 2 shown]
	v_mul_f64 v[38:39], v[100:101], s[18:19]
	v_mul_f64 v[94:95], v[106:107], s[18:19]
	;; [unrolled: 1-line block ×6, first 2 shown]
	v_fma_f64 v[12:13], v[28:29], s[24:25], v[84:85]
	v_fma_f64 v[16:17], v[36:37], s[24:25], v[86:87]
	;; [unrolled: 1-line block ×4, first 2 shown]
	v_fma_f64 v[36:37], v[14:15], s[26:27], -v[38:39]
	v_fma_f64 v[38:39], v[18:19], s[26:27], -v[94:95]
	;; [unrolled: 1-line block ×4, first 2 shown]
	v_fma_f64 v[152:153], v[22:23], s[30:31], v[92:93]
	v_fma_f64 v[26:27], v[26:27], s[30:31], v[106:107]
	v_add_f64 v[22:23], v[28:29], v[12:13]
	v_add_f64 v[90:91], v[30:31], v[16:17]
	v_add_f64 v[98:99], v[36:37], v[12:13]
	v_add_f64 v[108:109], v[38:39], v[16:17]
	v_fma_f64 v[110:111], v[104:105], s[28:29], v[94:95]
	v_fma_f64 v[114:115], v[102:103], s[28:29], v[100:101]
	;; [unrolled: 1-line block ×4, first 2 shown]
	v_add_f64 v[134:135], v[146:147], -v[150:151]
	v_add_f64 v[144:145], v[144:145], -v[148:149]
	v_add_f64 v[146:147], v[150:151], v[146:147]
	v_add_f64 v[148:149], v[128:129], -v[126:127]
	v_add_f64 v[150:151], v[124:125], v[130:131]
	;; [unrolled: 2-line block ×4, first 2 shown]
	ds_write_b128 v209, v[116:119]
	ds_write_b128 v209, v[120:123] offset:544
	ds_write_b128 v209, v[132:135] offset:1088
	;; [unrolled: 1-line block ×6, first 2 shown]
	s_mov_b64 s[18:19], exec
	buffer_load_dword v40, off, s[64:67], 0 ; 4-byte Folded Reload
	buffer_load_dword v41, off, s[64:67], 0 offset:4 ; 4-byte Folded Reload
	buffer_load_dword v42, off, s[64:67], 0 offset:8 ; 4-byte Folded Reload
	;; [unrolled: 1-line block ×7, first 2 shown]
	s_and_b64 s[20:21], s[18:19], s[2:3]
	s_mov_b64 exec, s[20:21]
	s_cbranch_execz .LBB0_11
; %bb.10:
	v_mul_f64 v[26:27], v[88:89], s[10:11]
	v_mul_f64 v[18:19], v[18:19], s[16:17]
	v_mul_f64 v[20:21], v[20:21], s[10:11]
	v_mul_f64 v[14:15], v[14:15], s[16:17]
	v_mul_f64 v[28:29], v[102:103], s[28:29]
	v_mul_f64 v[30:31], v[104:105], s[28:29]
	v_add_f64 v[36:37], v[112:113], -v[106:107]
	v_add_f64 v[38:39], v[96:97], -v[92:93]
	s_movk_i32 s10, 0xf1
	v_add_f64 v[26:27], v[18:19], -v[26:27]
	v_add_f64 v[18:19], v[110:111], v[98:99]
	v_add_f64 v[14:15], v[14:15], -v[20:21]
	v_add_f64 v[20:21], v[108:109], -v[114:115]
	v_mul_lo_u16_sdwa v0, v25, s10 dst_sel:DWORD dst_unused:UNUSED_PAD src0_sel:BYTE_0 src1_sel:DWORD
	v_add_f64 v[28:29], v[28:29], v[36:37]
	v_lshrrev_b16_e32 v0, 13, v0
	v_mul_u32_u24_e32 v0, 0xee, v0
	v_add_f64 v[16:17], v[26:27], v[16:17]
	v_add_f64 v[26:27], v[30:31], v[38:39]
	v_add_f64 v[30:31], v[14:15], v[12:13]
	v_add_f64 v[14:15], v[90:91], -v[100:101]
	v_add_f64 v[12:13], v[94:95], v[22:23]
	v_add_lshl_u32 v0, v0, v67, 4
	v_add_f64 v[94:95], v[28:29], v[16:17]
	v_add_f64 v[90:91], v[16:17], -v[28:29]
	v_add_f64 v[92:93], v[30:31], -v[26:27]
	v_add_f64 v[88:89], v[26:27], v[30:31]
	ds_write_b128 v0, v[84:87]
	ds_write_b128 v0, v[124:127] offset:2720
	ds_write_b128 v0, v[12:15] offset:544
	;; [unrolled: 1-line block ×6, first 2 shown]
.LBB0_11:
	s_or_b64 exec, exec, s[18:19]
	v_mov_b32_e32 v13, s9
	s_movk_i32 s10, 0x50
	v_mov_b32_e32 v12, s8
	v_mad_u64_u32 v[12:13], s[8:9], v212, s10, v[12:13]
	s_waitcnt vmcnt(0) lgkmcnt(0)
	s_barrier
	global_load_dwordx4 v[100:103], v[12:13], off offset:3536
	global_load_dwordx4 v[96:99], v[12:13], off offset:3552
	;; [unrolled: 1-line block ×5, first 2 shown]
	s_movk_i32 s8, 0x2530
	v_add_co_u32_e32 v12, vcc, s8, v12
	v_addc_co_u32_e32 v13, vcc, 0, v13, vcc
	global_load_dwordx4 v[120:123], v[12:13], off offset:3536
	global_load_dwordx4 v[116:119], v[12:13], off offset:3552
	;; [unrolled: 1-line block ×5, first 2 shown]
	ds_read_b128 v[12:15], v220
	ds_read_b128 v[16:19], v220 offset:1904
	ds_read_b128 v[20:23], v220 offset:3808
	;; [unrolled: 1-line block ×11, first 2 shown]
	s_mov_b32 s8, 0xe8584caa
	s_mov_b32 s9, 0x3febb67a
	;; [unrolled: 1-line block ×4, first 2 shown]
	s_waitcnt vmcnt(9) lgkmcnt(9)
	v_mul_f64 v[25:26], v[22:23], v[102:103]
	v_mul_f64 v[27:28], v[20:21], v[102:103]
	s_waitcnt vmcnt(8) lgkmcnt(7)
	v_mul_f64 v[29:30], v[138:139], v[98:99]
	v_mul_f64 v[36:37], v[136:137], v[98:99]
	;; [unrolled: 3-line block ×4, first 2 shown]
	v_mul_f64 v[170:171], v[154:155], v[90:91]
	v_mul_f64 v[172:173], v[152:153], v[90:91]
	v_fma_f64 v[20:21], v[20:21], v[100:101], -v[25:26]
	v_fma_f64 v[22:23], v[22:23], v[100:101], v[27:28]
	v_fma_f64 v[25:26], v[136:137], v[96:97], -v[29:30]
	v_fma_f64 v[27:28], v[138:139], v[96:97], v[36:37]
	;; [unrolled: 2-line block ×4, first 2 shown]
	s_waitcnt vmcnt(4)
	v_mul_f64 v[178:179], v[134:135], v[122:123]
	s_waitcnt vmcnt(3)
	v_mul_f64 v[182:183], v[142:143], v[118:119]
	v_mul_f64 v[184:185], v[140:141], v[118:119]
	s_waitcnt vmcnt(2)
	v_mul_f64 v[186:187], v[150:151], v[114:115]
	v_fma_f64 v[38:39], v[152:153], v[88:89], -v[170:171]
	v_fma_f64 v[136:137], v[154:155], v[88:89], v[172:173]
	v_add_f64 v[152:153], v[29:30], v[138:139]
	v_add_f64 v[170:171], v[36:37], -v[144:145]
	v_add_f64 v[172:173], v[22:23], v[36:37]
	v_add_f64 v[36:37], v[36:37], v[144:145]
	v_mul_f64 v[180:181], v[132:133], v[122:123]
	v_mul_f64 v[188:189], v[148:149], v[114:115]
	s_waitcnt vmcnt(1)
	v_mul_f64 v[190:191], v[158:159], v[110:111]
	s_waitcnt vmcnt(0) lgkmcnt(0)
	v_mul_f64 v[194:195], v[166:167], v[86:87]
	v_mul_f64 v[196:197], v[164:165], v[86:87]
	v_fma_f64 v[154:155], v[132:133], v[120:121], -v[178:179]
	v_fma_f64 v[162:163], v[140:141], v[116:117], -v[182:183]
	v_fma_f64 v[132:133], v[142:143], v[116:117], v[184:185]
	v_fma_f64 v[168:169], v[148:149], v[112:113], -v[186:187]
	v_add_f64 v[140:141], v[25:26], v[38:39]
	v_add_f64 v[142:143], v[27:28], -v[136:137]
	v_add_f64 v[146:147], v[14:15], v[27:28]
	v_add_f64 v[27:28], v[27:28], v[136:137]
	;; [unrolled: 1-line block ×3, first 2 shown]
	v_add_f64 v[29:30], v[29:30], -v[138:139]
	v_fma_f64 v[22:23], v[36:37], -0.5, v[22:23]
	v_fma_f64 v[20:21], v[152:153], -0.5, v[20:21]
	v_mul_f64 v[192:193], v[156:157], v[110:111]
	v_fma_f64 v[160:161], v[134:135], v[120:121], v[180:181]
	v_fma_f64 v[150:151], v[150:151], v[112:113], v[188:189]
	v_fma_f64 v[156:157], v[156:157], v[108:109], -v[190:191]
	v_fma_f64 v[164:165], v[164:165], v[84:85], -v[194:195]
	v_fma_f64 v[166:167], v[166:167], v[84:85], v[196:197]
	v_add_f64 v[134:135], v[12:13], v[25:26]
	v_add_f64 v[25:26], v[25:26], -v[38:39]
	v_fma_f64 v[12:13], v[140:141], -0.5, v[12:13]
	v_add_f64 v[140:141], v[146:147], v[136:137]
	v_fma_f64 v[14:15], v[27:28], -0.5, v[14:15]
	v_add_f64 v[36:37], v[172:173], v[144:145]
	v_fma_f64 v[144:145], v[29:30], s[10:11], v[22:23]
	v_fma_f64 v[146:147], v[170:171], s[10:11], v[20:21]
	;; [unrolled: 1-line block ×3, first 2 shown]
	v_add_f64 v[174:175], v[16:17], v[162:163]
	v_add_f64 v[176:177], v[162:163], v[156:157]
	;; [unrolled: 1-line block ×4, first 2 shown]
	v_fma_f64 v[20:21], v[170:171], s[8:9], v[20:21]
	v_fma_f64 v[22:23], v[29:30], s[8:9], v[22:23]
	;; [unrolled: 1-line block ×6, first 2 shown]
	v_mul_f64 v[25:26], v[144:145], s[8:9]
	v_mul_f64 v[142:143], v[146:147], -0.5
	v_add_f64 v[178:179], v[132:133], -v[158:159]
	v_add_f64 v[180:181], v[18:19], v[132:133]
	v_add_f64 v[132:133], v[132:133], v[158:159]
	v_add_f64 v[184:185], v[150:151], -v[166:167]
	v_add_f64 v[188:189], v[168:169], -v[164:165]
	v_add_f64 v[38:39], v[134:135], v[38:39]
	v_add_f64 v[27:28], v[148:149], v[138:139]
	;; [unrolled: 1-line block ×3, first 2 shown]
	v_fma_f64 v[16:17], v[176:177], -0.5, v[16:17]
	v_fma_f64 v[174:175], v[182:183], -0.5, v[154:155]
	;; [unrolled: 1-line block ×3, first 2 shown]
	v_mul_f64 v[148:149], v[20:21], s[10:11]
	v_mul_f64 v[152:153], v[22:23], -0.5
	v_fma_f64 v[20:21], v[20:21], 0.5, v[25:26]
	v_fma_f64 v[22:23], v[22:23], s[8:9], v[142:143]
	v_fma_f64 v[18:19], v[132:133], -0.5, v[18:19]
	v_add_f64 v[132:133], v[38:39], v[27:28]
	v_add_f64 v[134:135], v[140:141], v[36:37]
	v_add_f64 v[136:137], v[38:39], -v[27:28]
	v_add_f64 v[138:139], v[140:141], -v[36:37]
	v_fma_f64 v[25:26], v[144:145], 0.5, v[148:149]
	v_fma_f64 v[27:28], v[146:147], s[10:11], v[152:153]
	v_fma_f64 v[36:37], v[178:179], s[8:9], v[16:17]
	;; [unrolled: 1-line block ×5, first 2 shown]
	v_add_f64 v[140:141], v[29:30], v[20:21]
	v_add_f64 v[144:145], v[12:13], v[22:23]
	v_add_f64 v[148:149], v[29:30], -v[20:21]
	v_add_f64 v[152:153], v[12:13], -v[22:23]
	v_fma_f64 v[12:13], v[184:185], s[8:9], v[174:175]
	v_fma_f64 v[20:21], v[188:189], s[8:9], v[176:177]
	v_add_f64 v[22:23], v[162:163], -v[156:157]
	v_add_f64 v[29:30], v[180:181], v[158:159]
	v_add_f64 v[154:155], v[154:155], v[168:169]
	v_mul_f64 v[156:157], v[178:179], s[8:9]
	v_mul_f64 v[158:159], v[38:39], -0.5
	v_add_f64 v[150:151], v[160:161], v[150:151]
	v_mul_f64 v[160:161], v[12:13], s[10:11]
	v_mul_f64 v[162:163], v[20:21], -0.5
	v_fma_f64 v[174:175], v[22:23], s[10:11], v[18:19]
	v_fma_f64 v[18:19], v[22:23], s[8:9], v[18:19]
	v_add_f64 v[22:23], v[154:155], v[164:165]
	v_fma_f64 v[12:13], v[12:13], 0.5, v[156:157]
	v_fma_f64 v[20:21], v[20:21], s[8:9], v[158:159]
	v_add_f64 v[180:181], v[150:151], v[166:167]
	v_fma_f64 v[178:179], v[178:179], 0.5, v[160:161]
	v_fma_f64 v[38:39], v[38:39], s[10:11], v[162:163]
	v_add_f64 v[142:143], v[170:171], v[25:26]
	v_add_f64 v[146:147], v[14:15], v[27:28]
	v_add_f64 v[150:151], v[170:171], -v[25:26]
	v_add_f64 v[154:155], v[14:15], -v[27:28]
	v_add_f64 v[156:157], v[172:173], v[22:23]
	v_add_f64 v[160:161], v[36:37], v[12:13]
	v_add_f64 v[164:165], v[16:17], v[20:21]
	v_add_f64 v[158:159], v[29:30], v[180:181]
	v_add_f64 v[162:163], v[174:175], v[178:179]
	v_add_f64 v[166:167], v[18:19], v[38:39]
	v_add_f64 v[168:169], v[172:173], -v[22:23]
	v_add_f64 v[172:173], v[36:37], -v[12:13]
	;; [unrolled: 1-line block ×6, first 2 shown]
	ds_write_b128 v220, v[132:135]
	ds_write_b128 v220, v[140:143] offset:3808
	ds_write_b128 v220, v[144:147] offset:7616
	;; [unrolled: 1-line block ×11, first 2 shown]
	s_waitcnt lgkmcnt(0)
	s_barrier
	s_and_saveexec_b64 s[8:9], s[0:1]
	s_cbranch_execz .LBB0_13
; %bb.12:
	v_add_co_u32_e32 v12, vcc, s12, v255
	v_mov_b32_e32 v0, s13
	v_addc_co_u32_e32 v13, vcc, 0, v0, vcc
	v_add_co_u32_e32 v22, vcc, 0x5940, v12
	v_addc_co_u32_e32 v23, vcc, 0, v13, vcc
	v_add_co_u32_e32 v18, vcc, 0x5000, v12
	v_addc_co_u32_e32 v19, vcc, 0, v13, vcc
	global_load_dwordx4 v[18:21], v[18:19], off offset:2368
	ds_read_b128 v[14:17], v220
	s_movk_i32 s10, 0x6000
	s_waitcnt vmcnt(0) lgkmcnt(0)
	v_mul_f64 v[25:26], v[16:17], v[20:21]
	v_fma_f64 v[180:181], v[14:15], v[18:19], -v[25:26]
	v_mul_f64 v[14:15], v[14:15], v[20:21]
	v_fma_f64 v[182:183], v[16:17], v[18:19], v[14:15]
	global_load_dwordx4 v[18:21], v[22:23], off offset:1344
	ds_write_b128 v220, v[180:183]
	ds_read_b128 v[14:17], v255 offset:1344
	s_waitcnt vmcnt(0) lgkmcnt(0)
	v_mul_f64 v[25:26], v[16:17], v[20:21]
	v_fma_f64 v[180:181], v[14:15], v[18:19], -v[25:26]
	v_mul_f64 v[14:15], v[14:15], v[20:21]
	v_fma_f64 v[182:183], v[16:17], v[18:19], v[14:15]
	global_load_dwordx4 v[18:21], v[22:23], off offset:2688
	ds_read_b128 v[14:17], v255 offset:2688
	ds_write_b128 v255, v[180:183] offset:1344
	s_waitcnt vmcnt(0) lgkmcnt(1)
	v_mul_f64 v[25:26], v[16:17], v[20:21]
	v_fma_f64 v[180:181], v[14:15], v[18:19], -v[25:26]
	v_mul_f64 v[14:15], v[14:15], v[20:21]
	v_fma_f64 v[182:183], v[16:17], v[18:19], v[14:15]
	global_load_dwordx4 v[18:21], v[22:23], off offset:4032
	ds_read_b128 v[14:17], v255 offset:4032
	ds_write_b128 v255, v[180:183] offset:2688
	s_waitcnt vmcnt(0) lgkmcnt(1)
	v_mul_f64 v[22:23], v[16:17], v[20:21]
	v_fma_f64 v[180:181], v[14:15], v[18:19], -v[22:23]
	v_mul_f64 v[14:15], v[14:15], v[20:21]
	v_fma_f64 v[182:183], v[16:17], v[18:19], v[14:15]
	v_add_co_u32_e32 v18, vcc, s10, v12
	v_addc_co_u32_e32 v19, vcc, 0, v13, vcc
	global_load_dwordx4 v[18:21], v[18:19], off offset:3648
	ds_read_b128 v[14:17], v255 offset:5376
	s_movk_i32 s10, 0x7000
	ds_write_b128 v255, v[180:183] offset:4032
	s_waitcnt vmcnt(0) lgkmcnt(1)
	v_mul_f64 v[22:23], v[16:17], v[20:21]
	v_fma_f64 v[180:181], v[14:15], v[18:19], -v[22:23]
	v_mul_f64 v[14:15], v[14:15], v[20:21]
	v_add_co_u32_e32 v22, vcc, s10, v12
	v_addc_co_u32_e32 v23, vcc, 0, v13, vcc
	s_mov_b32 s10, 0x8000
	v_fma_f64 v[182:183], v[16:17], v[18:19], v[14:15]
	global_load_dwordx4 v[18:21], v[22:23], off offset:896
	ds_read_b128 v[14:17], v255 offset:6720
	ds_write_b128 v255, v[180:183] offset:5376
	s_waitcnt vmcnt(0) lgkmcnt(1)
	v_mul_f64 v[25:26], v[16:17], v[20:21]
	v_fma_f64 v[180:181], v[14:15], v[18:19], -v[25:26]
	v_mul_f64 v[14:15], v[14:15], v[20:21]
	v_fma_f64 v[182:183], v[16:17], v[18:19], v[14:15]
	global_load_dwordx4 v[18:21], v[22:23], off offset:2240
	ds_read_b128 v[14:17], v255 offset:8064
	ds_write_b128 v255, v[180:183] offset:6720
	s_waitcnt vmcnt(0) lgkmcnt(1)
	v_mul_f64 v[25:26], v[16:17], v[20:21]
	v_fma_f64 v[180:181], v[14:15], v[18:19], -v[25:26]
	v_mul_f64 v[14:15], v[14:15], v[20:21]
	;; [unrolled: 8-line block ×3, first 2 shown]
	v_add_co_u32_e32 v22, vcc, s10, v12
	v_addc_co_u32_e32 v23, vcc, 0, v13, vcc
	s_mov_b32 s10, 0x9000
	v_fma_f64 v[182:183], v[16:17], v[18:19], v[14:15]
	global_load_dwordx4 v[18:21], v[22:23], off offset:832
	ds_read_b128 v[14:17], v255 offset:10752
	ds_write_b128 v255, v[180:183] offset:9408
	s_waitcnt vmcnt(0) lgkmcnt(1)
	v_mul_f64 v[25:26], v[16:17], v[20:21]
	v_fma_f64 v[180:181], v[14:15], v[18:19], -v[25:26]
	v_mul_f64 v[14:15], v[14:15], v[20:21]
	v_fma_f64 v[182:183], v[16:17], v[18:19], v[14:15]
	global_load_dwordx4 v[18:21], v[22:23], off offset:2176
	ds_read_b128 v[14:17], v255 offset:12096
	ds_write_b128 v255, v[180:183] offset:10752
	s_waitcnt vmcnt(0) lgkmcnt(1)
	v_mul_f64 v[25:26], v[16:17], v[20:21]
	v_fma_f64 v[180:181], v[14:15], v[18:19], -v[25:26]
	v_mul_f64 v[14:15], v[14:15], v[20:21]
	;; [unrolled: 8-line block ×3, first 2 shown]
	v_add_co_u32_e32 v22, vcc, s10, v12
	v_addc_co_u32_e32 v23, vcc, 0, v13, vcc
	s_mov_b32 s10, 0xa000
	v_fma_f64 v[182:183], v[16:17], v[18:19], v[14:15]
	global_load_dwordx4 v[18:21], v[22:23], off offset:768
	ds_read_b128 v[14:17], v255 offset:14784
	ds_write_b128 v255, v[180:183] offset:13440
	s_waitcnt vmcnt(0) lgkmcnt(1)
	v_mul_f64 v[25:26], v[16:17], v[20:21]
	v_fma_f64 v[180:181], v[14:15], v[18:19], -v[25:26]
	v_mul_f64 v[14:15], v[14:15], v[20:21]
	v_fma_f64 v[182:183], v[16:17], v[18:19], v[14:15]
	global_load_dwordx4 v[18:21], v[22:23], off offset:2112
	ds_read_b128 v[14:17], v255 offset:16128
	ds_write_b128 v255, v[180:183] offset:14784
	s_waitcnt vmcnt(0) lgkmcnt(1)
	v_mul_f64 v[25:26], v[16:17], v[20:21]
	v_fma_f64 v[180:181], v[14:15], v[18:19], -v[25:26]
	v_mul_f64 v[14:15], v[14:15], v[20:21]
	v_add_co_u32_e32 v25, vcc, s10, v12
	v_addc_co_u32_e32 v26, vcc, 0, v13, vcc
	v_fma_f64 v[182:183], v[16:17], v[18:19], v[14:15]
	global_load_dwordx4 v[18:21], v[22:23], off offset:3456
	ds_read_b128 v[14:17], v255 offset:17472
	ds_write_b128 v255, v[180:183] offset:16128
	s_waitcnt vmcnt(0) lgkmcnt(1)
	v_mul_f64 v[22:23], v[16:17], v[20:21]
	v_fma_f64 v[180:181], v[14:15], v[18:19], -v[22:23]
	v_mul_f64 v[14:15], v[14:15], v[20:21]
	v_fma_f64 v[182:183], v[16:17], v[18:19], v[14:15]
	global_load_dwordx4 v[18:21], v[25:26], off offset:704
	ds_read_b128 v[14:17], v255 offset:18816
	ds_write_b128 v255, v[180:183] offset:17472
	s_waitcnt vmcnt(0) lgkmcnt(1)
	v_mul_f64 v[12:13], v[16:17], v[20:21]
	v_fma_f64 v[12:13], v[14:15], v[18:19], -v[12:13]
	v_mul_f64 v[14:15], v[14:15], v[20:21]
	v_fma_f64 v[14:15], v[16:17], v[18:19], v[14:15]
	global_load_dwordx4 v[16:19], v[25:26], off offset:2048
	ds_write_b128 v255, v[12:15] offset:18816
	ds_read_b128 v[12:15], v255 offset:20160
	s_waitcnt vmcnt(0) lgkmcnt(0)
	v_mul_f64 v[20:21], v[14:15], v[18:19]
	v_fma_f64 v[20:21], v[12:13], v[16:17], -v[20:21]
	v_mul_f64 v[12:13], v[12:13], v[18:19]
	v_fma_f64 v[22:23], v[14:15], v[16:17], v[12:13]
	global_load_dwordx4 v[16:19], v[25:26], off offset:3392
	ds_read_b128 v[12:15], v255 offset:21504
	ds_write_b128 v255, v[20:23] offset:20160
	s_waitcnt vmcnt(0) lgkmcnt(1)
	v_mul_f64 v[20:21], v[14:15], v[18:19]
	v_fma_f64 v[20:21], v[12:13], v[16:17], -v[20:21]
	v_mul_f64 v[12:13], v[12:13], v[18:19]
	v_fma_f64 v[22:23], v[14:15], v[16:17], v[12:13]
	ds_write_b128 v255, v[20:23] offset:21504
.LBB0_13:
	s_or_b64 exec, exec, s[8:9]
	s_waitcnt lgkmcnt(0)
	s_barrier
	s_and_saveexec_b64 s[8:9], s[0:1]
	s_cbranch_execz .LBB0_15
; %bb.14:
	ds_read_b128 v[132:135], v220
	ds_read_b128 v[140:143], v220 offset:1344
	ds_read_b128 v[144:147], v220 offset:2688
	;; [unrolled: 1-line block ×16, first 2 shown]
.LBB0_15:
	s_or_b64 exec, exec, s[8:9]
	s_waitcnt lgkmcnt(1)
	v_add_f64 v[229:230], v[146:147], v[42:43]
	s_mov_b32 s22, 0x910ea3b9
	s_mov_b32 s23, 0xbfeb34fa
	s_waitcnt lgkmcnt(0)
	v_add_f64 v[0:1], v[142:143], -v[200:201]
	s_mov_b32 s16, 0xeb564b22
	s_mov_b32 s17, 0xbfefdd0d
	v_add_f64 v[221:222], v[140:141], v[198:199]
	v_add_f64 v[223:224], v[142:143], v[200:201]
	v_mul_f64 v[6:7], v[229:230], s[22:23]
	v_add_f64 v[2:3], v[146:147], -v[42:43]
	s_mov_b32 s8, 0x3259b75e
	v_mul_f64 v[4:5], v[0:1], s[16:17]
	s_mov_b32 s24, 0xacd6c6b4
	s_mov_b32 s9, 0x3fb79ee6
	;; [unrolled: 1-line block ×3, first 2 shown]
	v_add_f64 v[237:238], v[140:141], -v[198:199]
	buffer_store_dword v6, off, s[64:67], 0 offset:232 ; 4-byte Folded Spill
	s_nop 0
	buffer_store_dword v7, off, s[64:67], 0 offset:236 ; 4-byte Folded Spill
	v_mul_f64 v[48:49], v[223:224], s[8:9]
	v_add_f64 v[227:228], v[144:145], v[40:41]
	v_fma_f64 v[12:13], v[221:222], s[8:9], -v[4:5]
	v_mul_f64 v[33:34], v[2:3], s[24:25]
	s_mov_b32 s20, 0x923c349f
	s_mov_b32 s18, 0x7faef3
	;; [unrolled: 1-line block ×4, first 2 shown]
	v_fma_f64 v[14:15], v[237:238], s[16:17], v[48:49]
	v_mul_f64 v[60:61], v[0:1], s[20:21]
	v_add_f64 v[12:13], v[132:133], v[12:13]
	v_add_f64 v[247:248], v[144:145], -v[40:41]
	v_mul_f64 v[58:59], v[229:230], s[18:19]
	v_fma_f64 v[20:21], v[227:228], s[18:19], -v[33:34]
	s_mov_b32 s10, 0xc61f0d01
	s_mov_b32 s36, 0x4363dd80
	;; [unrolled: 1-line block ×4, first 2 shown]
	v_add_f64 v[14:15], v[134:135], v[14:15]
	v_fma_f64 v[16:17], v[221:222], s[10:11], -v[60:61]
	v_mul_f64 v[231:232], v[2:3], s[36:37]
	v_add_f64 v[12:13], v[20:21], v[12:13]
	v_fma_f64 v[20:21], v[247:248], s[24:25], v[58:59]
	s_mov_b32 s52, 0x2a9d6da3
	s_mov_b32 s53, 0x3fe58eea
	v_mul_f64 v[239:240], v[223:224], s[10:11]
	v_add_f64 v[235:236], v[138:139], v[46:47]
	v_add_f64 v[16:17], v[132:133], v[16:17]
	s_mov_b32 s26, 0x75d4884
	s_mov_b32 s45, 0x3feec746
	v_add_f64 v[14:15], v[20:21], v[14:15]
	v_fma_f64 v[20:21], v[227:228], s[22:23], -v[231:232]
	s_mov_b32 s44, s20
	v_fma_f64 v[18:19], v[237:238], s[20:21], v[239:240]
	s_mov_b32 s27, 0x3fe7a5f6
	v_add_f64 v[233:234], v[136:137], v[44:45]
	v_mul_f64 v[10:11], v[235:236], s[26:27]
	v_add_f64 v[243:244], v[136:137], -v[44:45]
	v_mul_f64 v[225:226], v[235:236], s[10:11]
	v_add_f64 v[16:17], v[20:21], v[16:17]
	v_add_f64 v[31:32], v[150:151], -v[130:131]
	v_add_f64 v[18:19], v[134:135], v[18:19]
	s_mov_b32 s34, 0x7c9e640b
	s_mov_b32 s35, 0xbfeca52d
	;; [unrolled: 1-line block ×4, first 2 shown]
	v_add_f64 v[241:242], v[148:149], v[128:129]
	v_add_f64 v[245:246], v[150:151], v[130:131]
	v_mul_f64 v[210:211], v[31:32], s[46:47]
	s_mov_b32 s28, 0x370991
	s_mov_b32 s30, 0x2b2883cd
	;; [unrolled: 1-line block ×4, first 2 shown]
	v_add_f64 v[188:189], v[148:149], -v[128:129]
	v_add_f64 v[253:254], v[154:155], v[126:127]
	v_mul_f64 v[249:250], v[245:246], s[28:29]
	v_add_f64 v[194:195], v[154:155], -v[126:127]
	v_add_f64 v[251:252], v[152:153], v[124:125]
	v_add_f64 v[196:197], v[152:153], -v[124:125]
	s_mov_b32 s41, 0xbfe0d888
	s_mov_b32 s40, s36
	v_add_f64 v[192:193], v[158:159], v[178:179]
	v_add_f64 v[190:191], v[156:157], v[176:177]
	v_add_f64 v[202:203], v[156:157], -v[176:177]
	v_mul_f64 v[217:218], v[194:195], s[34:35]
	s_mov_b32 s58, s16
	s_mov_b32 s56, 0x6c9a05f6
	;; [unrolled: 1-line block ×3, first 2 shown]
	v_add_f64 v[204:205], v[162:163], v[174:175]
	v_mul_f64 v[22:23], v[192:193], s[22:23]
	v_mul_f64 v[25:26], v[192:193], s[8:9]
	s_mov_b32 s42, 0x6ed5f1bb
	s_mov_b32 s43, 0xbfe348c8
	;; [unrolled: 1-line block ×4, first 2 shown]
	v_add_f64 v[206:207], v[164:165], v[168:169]
	v_mul_f64 v[27:28], v[204:205], s[42:43]
	s_mov_b32 s51, 0xbfe9895b
	v_fma_f64 v[20:21], v[247:248], s[36:37], v[6:7]
	v_add_f64 v[6:7], v[138:139], -v[46:47]
	s_mov_b32 s50, s56
	v_add_f64 v[18:19], v[20:21], v[18:19]
	v_mul_f64 v[8:9], v[6:7], s[52:53]
	v_mul_f64 v[62:63], v[6:7], s[44:45]
	buffer_store_dword v8, off, s[64:67], 0 offset:16 ; 4-byte Folded Spill
	s_nop 0
	buffer_store_dword v9, off, s[64:67], 0 offset:20 ; 4-byte Folded Spill
	v_fma_f64 v[20:21], v[233:234], s[10:11], -v[62:63]
	buffer_store_dword v10, off, s[64:67], 0 offset:280 ; 4-byte Folded Spill
	s_nop 0
	buffer_store_dword v11, off, s[64:67], 0 offset:284 ; 4-byte Folded Spill
	v_add_f64 v[12:13], v[20:21], v[12:13]
	v_fma_f64 v[20:21], v[243:244], s[44:45], v[225:226]
	v_add_f64 v[14:15], v[20:21], v[14:15]
	v_fma_f64 v[20:21], v[233:234], s[26:27], -v[8:9]
	v_mul_f64 v[8:9], v[31:32], s[34:35]
	buffer_store_dword v8, off, s[64:67], 0 offset:248 ; 4-byte Folded Spill
	s_nop 0
	buffer_store_dword v9, off, s[64:67], 0 offset:252 ; 4-byte Folded Spill
	v_add_f64 v[16:17], v[20:21], v[16:17]
	v_fma_f64 v[20:21], v[243:244], s[52:53], v[10:11]
	v_mul_f64 v[10:11], v[245:246], s[30:31]
	buffer_store_dword v10, off, s[64:67], 0 offset:320 ; 4-byte Folded Spill
	s_nop 0
	buffer_store_dword v11, off, s[64:67], 0 offset:324 ; 4-byte Folded Spill
	v_add_f64 v[18:19], v[20:21], v[18:19]
	v_fma_f64 v[20:21], v[241:242], s[28:29], -v[210:211]
	v_add_f64 v[12:13], v[20:21], v[12:13]
	v_fma_f64 v[20:21], v[188:189], s[46:47], v[249:250]
	v_add_f64 v[14:15], v[20:21], v[14:15]
	v_fma_f64 v[20:21], v[241:242], s[30:31], -v[8:9]
	v_mul_f64 v[8:9], v[253:254], s[30:31]
	buffer_store_dword v8, off, s[64:67], 0 offset:264 ; 4-byte Folded Spill
	s_nop 0
	buffer_store_dword v9, off, s[64:67], 0 offset:268 ; 4-byte Folded Spill
	v_add_f64 v[16:17], v[20:21], v[16:17]
	v_fma_f64 v[20:21], v[188:189], s[34:35], v[10:11]
	v_mul_f64 v[10:11], v[253:254], s[18:19]
	v_add_f64 v[18:19], v[20:21], v[18:19]
	v_fma_f64 v[20:21], v[251:252], s[30:31], -v[217:218]
	v_add_f64 v[12:13], v[20:21], v[12:13]
	v_fma_f64 v[20:21], v[196:197], s[34:35], v[8:9]
	v_mul_f64 v[8:9], v[194:195], s[24:25]
	buffer_store_dword v8, off, s[64:67], 0 offset:296 ; 4-byte Folded Spill
	s_nop 0
	buffer_store_dword v9, off, s[64:67], 0 offset:300 ; 4-byte Folded Spill
	buffer_store_dword v10, off, s[64:67], 0 offset:344 ; 4-byte Folded Spill
	s_nop 0
	buffer_store_dword v11, off, s[64:67], 0 offset:348 ; 4-byte Folded Spill
	v_add_f64 v[14:15], v[20:21], v[14:15]
	v_fma_f64 v[20:21], v[251:252], s[18:19], -v[8:9]
	v_add_f64 v[16:17], v[20:21], v[16:17]
	v_fma_f64 v[20:21], v[196:197], s[24:25], v[10:11]
	v_mov_b32_e32 v8, v198
	v_mov_b32_e32 v9, v199
	;; [unrolled: 1-line block ×4, first 2 shown]
	v_add_f64 v[200:201], v[158:159], -v[178:179]
	v_add_f64 v[198:199], v[160:161], v[172:173]
	v_add_f64 v[18:19], v[20:21], v[18:19]
	v_mul_f64 v[20:21], v[200:201], s[40:41]
	buffer_store_dword v20, off, s[64:67], 0 ; 4-byte Folded Spill
	s_nop 0
	buffer_store_dword v21, off, s[64:67], 0 offset:4 ; 4-byte Folded Spill
	buffer_store_dword v22, off, s[64:67], 0 offset:312 ; 4-byte Folded Spill
	s_nop 0
	buffer_store_dword v23, off, s[64:67], 0 offset:316 ; 4-byte Folded Spill
	v_fma_f64 v[20:21], v[190:191], s[22:23], -v[20:21]
	v_add_f64 v[12:13], v[20:21], v[12:13]
	v_fma_f64 v[20:21], v[202:203], s[40:41], v[22:23]
	v_add_f64 v[20:21], v[20:21], v[14:15]
	v_mul_f64 v[14:15], v[200:201], s[58:59]
	buffer_store_dword v14, off, s[64:67], 0 offset:328 ; 4-byte Folded Spill
	s_nop 0
	buffer_store_dword v15, off, s[64:67], 0 offset:332 ; 4-byte Folded Spill
	buffer_store_dword v25, off, s[64:67], 0 offset:376 ; 4-byte Folded Spill
	s_nop 0
	buffer_store_dword v26, off, s[64:67], 0 offset:380 ; 4-byte Folded Spill
	v_fma_f64 v[14:15], v[190:191], s[8:9], -v[14:15]
	v_add_f64 v[22:23], v[14:15], v[16:17]
	v_fma_f64 v[14:15], v[202:203], s[58:59], v[25:26]
	v_add_f64 v[16:17], v[160:161], -v[172:173]
	v_add_f64 v[18:19], v[14:15], v[18:19]
	v_add_f64 v[14:15], v[162:163], -v[174:175]
	v_mul_f64 v[25:26], v[14:15], s[56:57]
	buffer_store_dword v25, off, s[64:67], 0 offset:272 ; 4-byte Folded Spill
	s_nop 0
	buffer_store_dword v26, off, s[64:67], 0 offset:276 ; 4-byte Folded Spill
	buffer_store_dword v27, off, s[64:67], 0 offset:336 ; 4-byte Folded Spill
	s_nop 0
	buffer_store_dword v28, off, s[64:67], 0 offset:340 ; 4-byte Folded Spill
	v_fma_f64 v[25:26], v[198:199], s[42:43], -v[25:26]
	v_add_f64 v[25:26], v[25:26], v[12:13]
	v_fma_f64 v[12:13], v[16:17], s[56:57], v[27:28]
	v_add_f64 v[27:28], v[12:13], v[20:21]
	v_mul_f64 v[12:13], v[14:15], s[48:49]
	v_mul_f64 v[20:21], v[204:205], s[28:29]
	buffer_store_dword v12, off, s[64:67], 0 offset:360 ; 4-byte Folded Spill
	s_nop 0
	buffer_store_dword v13, off, s[64:67], 0 offset:364 ; 4-byte Folded Spill
	buffer_store_dword v20, off, s[64:67], 0 offset:368 ; 4-byte Folded Spill
	s_nop 0
	buffer_store_dword v21, off, s[64:67], 0 offset:372 ; 4-byte Folded Spill
	v_fma_f64 v[12:13], v[198:199], s[28:29], -v[12:13]
	v_add_f64 v[29:30], v[12:13], v[22:23]
	v_fma_f64 v[12:13], v[16:17], s[48:49], v[20:21]
	v_add_f64 v[20:21], v[166:167], -v[170:171]
	v_add_f64 v[36:37], v[12:13], v[18:19]
	v_add_f64 v[12:13], v[166:167], v[170:171]
	v_mul_f64 v[22:23], v[20:21], s[52:53]
	v_add_f64 v[18:19], v[164:165], -v[168:169]
	v_mul_f64 v[182:183], v[12:13], s[26:27]
	buffer_store_dword v182, off, s[64:67], 0 offset:352 ; 4-byte Folded Spill
	s_nop 0
	buffer_store_dword v183, off, s[64:67], 0 offset:356 ; 4-byte Folded Spill
	v_fma_f64 v[38:39], v[206:207], s[26:27], -v[22:23]
	s_waitcnt vmcnt(0)
	s_barrier
	v_add_f64 v[180:181], v[38:39], v[25:26]
	v_mul_f64 v[38:39], v[12:13], s[42:43]
	v_fma_f64 v[25:26], v[18:19], s[52:53], v[182:183]
	v_add_f64 v[182:183], v[25:26], v[27:28]
	v_mul_f64 v[27:28], v[20:21], s[50:51]
	v_fma_f64 v[25:26], v[206:207], s[42:43], -v[27:28]
	v_add_f64 v[184:185], v[25:26], v[29:30]
	v_fma_f64 v[25:26], v[18:19], s[50:51], v[38:39]
	v_add_f64 v[186:187], v[25:26], v[36:37]
	s_and_saveexec_b64 s[38:39], s[0:1]
	s_cbranch_execz .LBB0_17
; %bb.16:
	v_mul_f64 v[25:26], v[237:238], s[24:25]
	buffer_store_dword v27, off, s[64:67], 0 offset:552 ; 4-byte Folded Spill
	s_nop 0
	buffer_store_dword v28, off, s[64:67], 0 offset:556 ; 4-byte Folded Spill
	buffer_store_dword v38, off, s[64:67], 0 offset:568 ; 4-byte Folded Spill
	s_nop 0
	buffer_store_dword v39, off, s[64:67], 0 offset:572 ; 4-byte Folded Spill
	;; [unrolled: 3-line block ×3, first 2 shown]
	buffer_store_dword v209, off, s[64:67], 0 offset:416 ; 4-byte Folded Spill
	v_mul_f64 v[36:37], v[0:1], s[24:25]
	v_mul_f64 v[38:39], v[247:248], s[46:47]
	buffer_store_dword v22, off, s[64:67], 0 offset:520 ; 4-byte Folded Spill
	s_nop 0
	buffer_store_dword v23, off, s[64:67], 0 offset:524 ; 4-byte Folded Spill
	buffer_store_dword v213, off, s[64:67], 0 offset:392 ; 4-byte Folded Spill
	s_nop 0
	buffer_store_dword v214, off, s[64:67], 0 offset:396 ; 4-byte Folded Spill
	buffer_store_dword v215, off, s[64:67], 0 offset:400 ; 4-byte Folded Spill
	;; [unrolled: 1-line block ×3, first 2 shown]
	v_fma_f64 v[208:209], v[223:224], s[18:19], v[25:26]
	buffer_store_dword v217, off, s[64:67], 0 offset:528 ; 4-byte Folded Spill
	s_nop 0
	buffer_store_dword v218, off, s[64:67], 0 offset:532 ; 4-byte Folded Spill
	buffer_store_dword v65, off, s[64:67], 0 offset:408 ; 4-byte Folded Spill
	;; [unrolled: 1-line block ×4, first 2 shown]
	s_nop 0
	buffer_store_dword v211, off, s[64:67], 0 offset:564 ; 4-byte Folded Spill
	v_mul_f64 v[216:217], v[243:244], s[40:41]
	v_mul_f64 v[212:213], v[2:3], s[46:47]
	v_fma_f64 v[210:211], v[221:222], s[18:19], -v[36:37]
	v_fma_f64 v[218:219], v[229:230], s[28:29], v[38:39]
	v_add_f64 v[208:209], v[134:135], v[208:209]
	buffer_store_dword v60, off, s[64:67], 0 offset:624 ; 4-byte Folded Spill
	s_nop 0
	buffer_store_dword v61, off, s[64:67], 0 offset:628 ; 4-byte Folded Spill
	buffer_store_dword v249, off, s[64:67], 0 offset:600 ; 4-byte Folded Spill
	s_nop 0
	buffer_store_dword v250, off, s[64:67], 0 offset:604 ; 4-byte Folded Spill
	;; [unrolled: 3-line block ×4, first 2 shown]
	v_mov_b32_e32 v34, v7
	v_mov_b32_e32 v33, v6
	buffer_store_dword v58, off, s[64:67], 0 offset:616 ; 4-byte Folded Spill
	s_nop 0
	buffer_store_dword v59, off, s[64:67], 0 offset:620 ; 4-byte Folded Spill
	buffer_store_dword v8, off, s[64:67], 0 offset:424 ; 4-byte Folded Spill
	s_nop 0
	buffer_store_dword v9, off, s[64:67], 0 offset:428 ; 4-byte Folded Spill
	buffer_store_dword v10, off, s[64:67], 0 offset:432 ; 4-byte Folded Spill
	;; [unrolled: 1-line block ×3, first 2 shown]
	v_mul_f64 v[214:215], v[188:189], s[52:53]
	v_mul_f64 v[6:7], v[33:34], s[40:41]
	v_fma_f64 v[8:9], v[227:228], s[28:29], -v[212:213]
	v_add_f64 v[10:11], v[132:133], v[210:211]
	v_fma_f64 v[210:211], v[235:236], s[22:23], v[216:217]
	v_add_f64 v[208:209], v[218:219], v[208:209]
	v_mov_b32_e32 v65, v239
	v_mul_f64 v[22:23], v[196:197], s[50:51]
	v_fma_f64 v[25:26], v[223:224], s[18:19], -v[25:26]
	v_mov_b32_e32 v66, v240
	v_fma_f64 v[239:240], v[233:234], s[22:23], -v[6:7]
	v_add_f64 v[8:9], v[8:9], v[10:11]
	v_fma_f64 v[10:11], v[245:246], s[26:27], v[214:215]
	v_add_f64 v[208:209], v[210:211], v[208:209]
	buffer_store_dword v225, off, s[64:67], 0 offset:608 ; 4-byte Folded Spill
	s_nop 0
	buffer_store_dword v226, off, s[64:67], 0 offset:612 ; 4-byte Folded Spill
	buffer_store_dword v231, off, s[64:67], 0 offset:632 ; 4-byte Folded Spill
	s_nop 0
	buffer_store_dword v232, off, s[64:67], 0 offset:636 ; 4-byte Folded Spill
	buffer_store_dword v62, off, s[64:67], 0 offset:592 ; 4-byte Folded Spill
	s_nop 0
	buffer_store_dword v63, off, s[64:67], 0 offset:596 ; 4-byte Folded Spill
	s_mov_b32 s55, 0x3feca52d
	s_mov_b32 s54, s34
	v_mov_b32_e32 v59, v34
	v_mov_b32_e32 v63, v32
	;; [unrolled: 1-line block ×3, first 2 shown]
	v_mul_f64 v[218:219], v[31:32], s[52:53]
	v_mov_b32_e32 v62, v31
	v_mul_f64 v[31:32], v[202:203], s[54:55]
	v_fma_f64 v[33:34], v[229:230], s[28:29], -v[38:39]
	v_add_f64 v[25:26], v[134:135], v[25:26]
	v_add_f64 v[8:9], v[239:240], v[8:9]
	v_fma_f64 v[239:240], v[253:254], s[42:43], v[22:23]
	v_add_f64 v[10:11], v[10:11], v[208:209]
	v_mul_f64 v[29:30], v[16:17], s[20:21]
	v_mul_f64 v[4:5], v[194:195], s[50:51]
	;; [unrolled: 1-line block ×3, first 2 shown]
	v_fma_f64 v[38:39], v[241:242], s[26:27], -v[218:219]
	v_fma_f64 v[216:217], v[235:236], s[22:23], -v[216:217]
	v_fma_f64 v[35:36], v[221:222], s[18:19], v[36:37]
	v_add_f64 v[25:26], v[33:34], v[25:26]
	v_add_f64 v[10:11], v[239:240], v[10:11]
	v_fma_f64 v[239:240], v[192:193], s[30:31], v[31:32]
	v_mul_f64 v[27:28], v[18:19], s[58:59]
	v_mul_f64 v[208:209], v[200:201], s[54:55]
	v_mul_f64 v[33:34], v[247:248], s[54:55]
	v_add_f64 v[8:9], v[38:39], v[8:9]
	v_fma_f64 v[37:38], v[251:252], s[42:43], -v[4:5]
	v_fma_f64 v[212:213], v[227:228], s[28:29], v[212:213]
	v_add_f64 v[35:36], v[132:133], v[35:36]
	v_add_f64 v[25:26], v[216:217], v[25:26]
	v_fma_f64 v[216:217], v[223:224], s[22:23], v[210:211]
	v_fma_f64 v[214:215], v[245:246], s[26:27], -v[214:215]
	v_add_f64 v[10:11], v[239:240], v[10:11]
	v_fma_f64 v[239:240], v[204:205], s[10:11], v[29:30]
	v_mov_b32_e32 v250, v3
	v_mov_b32_e32 v249, v2
	v_mul_f64 v[2:3], v[14:15], s[20:21]
	v_mul_f64 v[231:232], v[243:244], s[16:17]
	v_add_f64 v[8:9], v[37:38], v[8:9]
	v_fma_f64 v[37:38], v[190:191], s[30:31], -v[208:209]
	v_add_f64 v[35:36], v[212:213], v[35:36]
	v_fma_f64 v[212:213], v[229:230], s[30:31], v[33:34]
	v_add_f64 v[216:217], v[134:135], v[216:217]
	v_add_f64 v[25:26], v[214:215], v[25:26]
	v_fma_f64 v[214:215], v[12:13], s[8:9], v[27:28]
	v_add_f64 v[10:11], v[239:240], v[10:11]
	v_fma_f64 v[6:7], v[233:234], s[22:23], v[6:7]
	v_mov_b32_e32 v61, v1
	v_mov_b32_e32 v60, v0
	v_mul_f64 v[0:1], v[20:21], s[58:59]
	v_mul_f64 v[225:226], v[188:189], s[56:57]
	v_add_f64 v[8:9], v[37:38], v[8:9]
	v_fma_f64 v[37:38], v[198:199], s[10:11], -v[2:3]
	v_fma_f64 v[22:23], v[253:254], s[42:43], -v[22:23]
	v_add_f64 v[212:213], v[212:213], v[216:217]
	v_fma_f64 v[216:217], v[235:236], s[8:9], v[231:232]
	v_add_f64 v[214:215], v[214:215], v[10:11]
	v_fma_f64 v[10:11], v[241:242], s[26:27], v[218:219]
	v_add_f64 v[6:7], v[6:7], v[35:36]
	v_fma_f64 v[239:240], v[206:207], s[8:9], -v[0:1]
	v_fma_f64 v[31:32], v[192:193], s[30:31], -v[31:32]
	v_add_f64 v[8:9], v[37:38], v[8:9]
	v_add_f64 v[22:23], v[22:23], v[25:26]
	v_mul_f64 v[25:26], v[196:197], s[48:49]
	v_fma_f64 v[35:36], v[245:246], s[42:43], v[225:226]
	v_add_f64 v[37:38], v[216:217], v[212:213]
	v_fma_f64 v[4:5], v[251:252], s[42:43], v[4:5]
	v_add_f64 v[6:7], v[10:11], v[6:7]
	;; [unrolled: 2-line block ×3, first 2 shown]
	v_fma_f64 v[8:9], v[204:205], s[10:11], -v[29:30]
	v_add_f64 v[10:11], v[31:32], v[22:23]
	v_fma_f64 v[29:30], v[253:254], s[28:29], v[25:26]
	v_add_f64 v[31:32], v[35:36], v[37:38]
	v_fma_f64 v[35:36], v[190:191], s[30:31], v[208:209]
	v_mul_f64 v[37:38], v[60:61], s[40:41]
	v_add_f64 v[4:5], v[4:5], v[6:7]
	v_mul_f64 v[22:23], v[202:203], s[24:25]
	buffer_store_dword v212, off, s[64:67], 0 offset:440 ; 4-byte Folded Spill
	s_nop 0
	buffer_store_dword v213, off, s[64:67], 0 offset:444 ; 4-byte Folded Spill
	buffer_store_dword v214, off, s[64:67], 0 offset:448 ; 4-byte Folded Spill
	;; [unrolled: 1-line block ×3, first 2 shown]
	v_fma_f64 v[27:28], v[12:13], s[8:9], -v[27:28]
	v_add_f64 v[6:7], v[8:9], v[10:11]
	v_add_f64 v[29:30], v[29:30], v[31:32]
	v_mul_f64 v[31:32], v[249:250], s[54:55]
	v_fma_f64 v[208:209], v[221:222], s[22:23], -v[37:38]
	v_add_f64 v[4:5], v[35:36], v[4:5]
	v_fma_f64 v[0:1], v[206:207], s[8:9], v[0:1]
	v_mul_f64 v[8:9], v[16:17], s[52:53]
	v_fma_f64 v[10:11], v[192:193], s[18:19], v[22:23]
	v_add_f64 v[216:217], v[27:28], v[6:7]
	v_fma_f64 v[6:7], v[223:224], s[22:23], -v[210:211]
	v_fma_f64 v[214:215], v[227:228], s[30:31], -v[31:32]
	v_add_f64 v[208:209], v[132:133], v[208:209]
	v_add_f64 v[2:3], v[2:3], v[4:5]
	v_mul_f64 v[35:36], v[18:19], s[20:21]
	v_fma_f64 v[212:213], v[204:205], s[26:27], v[8:9]
	v_add_f64 v[10:11], v[10:11], v[29:30]
	v_mul_f64 v[29:30], v[58:59], s[16:17]
	v_add_f64 v[6:7], v[134:135], v[6:7]
	v_fma_f64 v[31:32], v[227:228], s[30:31], v[31:32]
	v_add_f64 v[208:209], v[214:215], v[208:209]
	v_add_f64 v[214:215], v[0:1], v[2:3]
	v_fma_f64 v[0:1], v[221:222], s[22:23], v[37:38]
	v_fma_f64 v[2:3], v[229:230], s[30:31], -v[33:34]
	v_fma_f64 v[4:5], v[12:13], s[10:11], v[35:36]
	v_add_f64 v[10:11], v[212:213], v[10:11]
	v_mul_f64 v[27:28], v[62:63], s[56:57]
	v_fma_f64 v[210:211], v[233:234], s[8:9], -v[29:30]
	buffer_store_dword v214, off, s[64:67], 0 offset:472 ; 4-byte Folded Spill
	s_nop 0
	buffer_store_dword v215, off, s[64:67], 0 offset:476 ; 4-byte Folded Spill
	buffer_store_dword v216, off, s[64:67], 0 offset:480 ; 4-byte Folded Spill
	;; [unrolled: 1-line block ×3, first 2 shown]
	v_add_f64 v[0:1], v[132:133], v[0:1]
	v_fma_f64 v[37:38], v[235:236], s[8:9], -v[231:232]
	v_add_f64 v[2:3], v[2:3], v[6:7]
	v_fma_f64 v[29:30], v[233:234], s[8:9], v[29:30]
	v_add_f64 v[216:217], v[4:5], v[10:11]
	v_mul_f64 v[4:5], v[194:195], s[48:49]
	v_fma_f64 v[10:11], v[241:242], s[42:43], -v[27:28]
	v_add_f64 v[33:34], v[210:211], v[208:209]
	v_add_f64 v[0:1], v[31:32], v[0:1]
	v_fma_f64 v[31:32], v[245:246], s[42:43], -v[225:226]
	v_add_f64 v[2:3], v[37:38], v[2:3]
	v_fma_f64 v[27:28], v[241:242], s[42:43], v[27:28]
	v_mul_f64 v[208:209], v[200:201], s[24:25]
	v_fma_f64 v[210:211], v[251:252], s[28:29], -v[4:5]
	v_mul_f64 v[212:213], v[237:238], s[50:51]
	v_add_f64 v[10:11], v[10:11], v[33:34]
	v_add_f64 v[0:1], v[29:30], v[0:1]
	v_fma_f64 v[25:26], v[253:254], s[28:29], -v[25:26]
	v_add_f64 v[2:3], v[31:32], v[2:3]
	v_fma_f64 v[4:5], v[251:252], s[28:29], v[4:5]
	v_fma_f64 v[37:38], v[190:191], s[18:19], -v[208:209]
	v_mul_f64 v[31:32], v[247:248], s[44:45]
	v_mul_f64 v[29:30], v[14:15], s[52:53]
	v_add_f64 v[10:11], v[210:211], v[10:11]
	v_add_f64 v[0:1], v[27:28], v[0:1]
	v_fma_f64 v[210:211], v[223:224], s[42:43], v[212:213]
	v_fma_f64 v[22:23], v[192:193], s[18:19], -v[22:23]
	v_add_f64 v[2:3], v[25:26], v[2:3]
	v_fma_f64 v[208:209], v[190:191], s[18:19], v[208:209]
	v_mul_f64 v[25:26], v[243:244], s[48:49]
	v_fma_f64 v[27:28], v[229:230], s[10:11], v[31:32]
	v_add_f64 v[10:11], v[37:38], v[10:11]
	v_add_f64 v[0:1], v[4:5], v[0:1]
	;; [unrolled: 1-line block ×3, first 2 shown]
	v_mul_f64 v[6:7], v[20:21], s[20:21]
	v_fma_f64 v[210:211], v[198:199], s[26:27], -v[29:30]
	v_fma_f64 v[4:5], v[204:205], s[26:27], -v[8:9]
	v_add_f64 v[2:3], v[22:23], v[2:3]
	v_fma_f64 v[29:30], v[198:199], s[26:27], v[29:30]
	v_mul_f64 v[8:9], v[188:189], s[40:41]
	v_add_f64 v[0:1], v[208:209], v[0:1]
	v_fma_f64 v[22:23], v[235:236], s[28:29], v[25:26]
	v_add_f64 v[27:28], v[27:28], v[37:38]
	v_fma_f64 v[33:34], v[206:207], s[10:11], -v[6:7]
	v_add_f64 v[10:11], v[210:211], v[10:11]
	v_fma_f64 v[35:36], v[12:13], s[10:11], -v[35:36]
	v_add_f64 v[2:3], v[4:5], v[2:3]
	v_fma_f64 v[6:7], v[206:207], s[10:11], v[6:7]
	v_add_f64 v[0:1], v[29:30], v[0:1]
	v_mul_f64 v[4:5], v[196:197], s[58:59]
	v_fma_f64 v[37:38], v[245:246], s[22:23], v[8:9]
	v_add_f64 v[22:23], v[22:23], v[27:28]
	v_mul_f64 v[27:28], v[60:61], s[50:51]
	s_mov_b32 s61, 0xbfe58eea
	s_mov_b32 s60, s52
	v_add_f64 v[214:215], v[33:34], v[10:11]
	v_add_f64 v[2:3], v[35:36], v[2:3]
	;; [unrolled: 1-line block ×3, first 2 shown]
	v_mul_f64 v[29:30], v[202:203], s[60:61]
	v_fma_f64 v[208:209], v[253:254], s[8:9], v[4:5]
	v_add_f64 v[22:23], v[37:38], v[22:23]
	v_mul_f64 v[37:38], v[249:250], s[44:45]
	v_fma_f64 v[210:211], v[221:222], s[42:43], -v[27:28]
	buffer_store_dword v214, off, s[64:67], 0 offset:488 ; 4-byte Folded Spill
	s_nop 0
	buffer_store_dword v215, off, s[64:67], 0 offset:492 ; 4-byte Folded Spill
	buffer_store_dword v216, off, s[64:67], 0 offset:496 ; 4-byte Folded Spill
	;; [unrolled: 1-line block ×4, first 2 shown]
	s_nop 0
	buffer_store_dword v1, off, s[64:67], 0 offset:508 ; 4-byte Folded Spill
	buffer_store_dword v2, off, s[64:67], 0 offset:512 ; 4-byte Folded Spill
	;; [unrolled: 1-line block ×3, first 2 shown]
	v_mul_f64 v[0:1], v[16:17], s[24:25]
	v_fma_f64 v[2:3], v[192:193], s[26:27], v[29:30]
	v_add_f64 v[6:7], v[208:209], v[22:23]
	v_fma_f64 v[10:11], v[227:228], s[10:11], -v[37:38]
	v_add_f64 v[22:23], v[132:133], v[210:211]
	v_mul_f64 v[33:34], v[58:59], s[48:49]
	v_fma_f64 v[31:32], v[229:230], s[10:11], -v[31:32]
	v_fma_f64 v[25:26], v[235:236], s[28:29], -v[25:26]
	v_fma_f64 v[35:36], v[204:205], s[18:19], v[0:1]
	v_fma_f64 v[8:9], v[245:246], s[22:23], -v[8:9]
	v_add_f64 v[2:3], v[2:3], v[6:7]
	v_mul_f64 v[6:7], v[62:63], s[40:41]
	v_add_f64 v[10:11], v[10:11], v[22:23]
	v_fma_f64 v[22:23], v[233:234], s[28:29], -v[33:34]
	v_fma_f64 v[4:5], v[253:254], s[8:9], -v[4:5]
	;; [unrolled: 1-line block ×4, first 2 shown]
	v_mul_f64 v[225:226], v[188:189], s[46:47]
	v_add_f64 v[2:3], v[35:36], v[2:3]
	v_fma_f64 v[35:36], v[241:242], s[22:23], -v[6:7]
	v_fma_f64 v[6:7], v[241:242], s[22:23], v[6:7]
	v_add_f64 v[10:11], v[22:23], v[10:11]
	v_mul_f64 v[22:23], v[194:195], s[58:59]
	v_mul_f64 v[239:240], v[196:197], s[34:35]
	;; [unrolled: 1-line block ×4, first 2 shown]
	v_add_f64 v[10:11], v[35:36], v[10:11]
	v_fma_f64 v[35:36], v[251:252], s[8:9], -v[22:23]
	v_fma_f64 v[22:23], v[251:252], s[8:9], v[22:23]
	v_add_f64 v[10:11], v[35:36], v[10:11]
	v_mul_f64 v[35:36], v[200:201], s[60:61]
	v_fma_f64 v[208:209], v[190:191], s[26:27], -v[35:36]
	v_fma_f64 v[35:36], v[190:191], s[26:27], v[35:36]
	v_add_f64 v[10:11], v[208:209], v[10:11]
	v_mul_f64 v[208:209], v[14:15], s[24:25]
	v_fma_f64 v[210:211], v[198:199], s[18:19], -v[208:209]
	v_add_f64 v[10:11], v[210:211], v[10:11]
	v_mul_f64 v[210:211], v[18:19], s[54:55]
	v_fma_f64 v[214:215], v[12:13], s[30:31], v[210:211]
	v_fma_f64 v[210:211], v[12:13], s[30:31], -v[210:211]
	v_add_f64 v[216:217], v[214:215], v[2:3]
	v_mul_f64 v[2:3], v[20:21], s[54:55]
	v_fma_f64 v[214:215], v[206:207], s[30:31], -v[2:3]
	v_fma_f64 v[2:3], v[206:207], s[30:31], v[2:3]
	v_add_f64 v[214:215], v[214:215], v[10:11]
	v_fma_f64 v[10:11], v[223:224], s[42:43], -v[212:213]
	buffer_store_dword v214, off, s[64:67], 0 offset:536 ; 4-byte Folded Spill
	s_nop 0
	buffer_store_dword v215, off, s[64:67], 0 offset:540 ; 4-byte Folded Spill
	buffer_store_dword v216, off, s[64:67], 0 offset:544 ; 4-byte Folded Spill
	;; [unrolled: 1-line block ×3, first 2 shown]
	v_add_f64 v[10:11], v[134:135], v[10:11]
	v_mul_f64 v[214:215], v[233:234], s[26:27]
	v_mul_f64 v[212:213], v[227:228], s[22:23]
	;; [unrolled: 1-line block ×3, first 2 shown]
	v_add_f64 v[10:11], v[31:32], v[10:11]
	v_mul_f64 v[31:32], v[237:238], s[16:17]
	v_add_f64 v[10:11], v[25:26], v[10:11]
	v_fma_f64 v[25:26], v[227:228], s[10:11], v[37:38]
	v_add_f64 v[31:32], v[48:49], -v[31:32]
	v_add_f64 v[8:9], v[8:9], v[10:11]
	v_fma_f64 v[10:11], v[221:222], s[42:43], v[27:28]
	v_fma_f64 v[27:28], v[233:234], s[28:29], v[33:34]
	buffer_load_dword v33, off, s[64:67], 0 offset:232 ; 4-byte Folded Reload
	buffer_load_dword v34, off, s[64:67], 0 offset:236 ; 4-byte Folded Reload
	;; [unrolled: 1-line block ×4, first 2 shown]
	v_add_f64 v[31:32], v[134:135], v[31:32]
	v_add_f64 v[4:5], v[4:5], v[8:9]
	v_add_f64 v[10:11], v[132:133], v[10:11]
	v_mul_f64 v[8:9], v[247:248], s[36:37]
	v_add_f64 v[4:5], v[29:30], v[4:5]
	v_add_f64 v[10:11], v[25:26], v[10:11]
	v_mul_f64 v[25:26], v[237:238], s[20:21]
	v_mul_f64 v[29:30], v[243:244], s[52:53]
	v_add_f64 v[0:1], v[0:1], v[4:5]
	v_add_f64 v[10:11], v[27:28], v[10:11]
	v_add_f64 v[25:26], v[65:66], -v[25:26]
	buffer_load_dword v65, off, s[64:67], 0 offset:320 ; 4-byte Folded Reload
	buffer_load_dword v66, off, s[64:67], 0 offset:324 ; 4-byte Folded Reload
	v_mul_f64 v[27:28], v[221:222], s[8:9]
	v_mul_f64 v[4:5], v[227:228], s[18:19]
	v_add_f64 v[6:7], v[6:7], v[10:11]
	v_mul_f64 v[10:11], v[188:189], s[34:35]
	v_add_f64 v[25:26], v[134:135], v[25:26]
	v_add_f64 v[6:7], v[22:23], v[6:7]
	v_mul_f64 v[22:23], v[196:197], s[24:25]
	v_add_f64 v[6:7], v[35:36], v[6:7]
	s_waitcnt vmcnt(4)
	v_add_f64 v[8:9], v[33:34], -v[8:9]
	v_mul_f64 v[33:34], v[221:222], s[10:11]
	s_waitcnt vmcnt(2)
	v_add_f64 v[29:30], v[37:38], -v[29:30]
	v_mul_f64 v[37:38], v[247:248], s[24:25]
	v_add_f64 v[8:9], v[8:9], v[25:26]
	v_mul_f64 v[25:26], v[202:203], s[58:59]
	v_add_f64 v[8:9], v[29:30], v[8:9]
	v_mul_f64 v[29:30], v[243:244], s[44:45]
	s_waitcnt vmcnt(0)
	v_add_f64 v[10:11], v[65:66], -v[10:11]
	buffer_load_dword v65, off, s[64:67], 0 offset:624 ; 4-byte Folded Reload
	buffer_load_dword v66, off, s[64:67], 0 offset:628 ; 4-byte Folded Reload
	v_add_f64 v[8:9], v[10:11], v[8:9]
	v_mul_f64 v[10:11], v[241:242], s[30:31]
	s_waitcnt vmcnt(0)
	v_add_f64 v[33:34], v[33:34], v[65:66]
	buffer_load_dword v65, off, s[64:67], 0 offset:376 ; 4-byte Folded Reload
	buffer_load_dword v66, off, s[64:67], 0 offset:380 ; 4-byte Folded Reload
	v_add_f64 v[33:34], v[132:133], v[33:34]
	s_waitcnt vmcnt(0)
	v_add_f64 v[25:26], v[65:66], -v[25:26]
	buffer_load_dword v65, off, s[64:67], 0 offset:344 ; 4-byte Folded Reload
	buffer_load_dword v66, off, s[64:67], 0 offset:348 ; 4-byte Folded Reload
	s_waitcnt vmcnt(0)
	v_add_f64 v[22:23], v[65:66], -v[22:23]
	buffer_load_dword v65, off, s[64:67], 0 offset:632 ; 4-byte Folded Reload
	buffer_load_dword v66, off, s[64:67], 0 offset:636 ; 4-byte Folded Reload
	;; [unrolled: 1-line block ×4, first 2 shown]
	v_add_f64 v[8:9], v[22:23], v[8:9]
	v_mul_f64 v[22:23], v[190:191], s[22:23]
	v_add_f64 v[8:9], v[25:26], v[8:9]
	s_waitcnt vmcnt(2)
	v_add_f64 v[212:213], v[212:213], v[65:66]
	s_waitcnt vmcnt(0)
	v_add_f64 v[214:215], v[214:215], v[48:49]
	buffer_load_dword v48, off, s[64:67], 0 offset:616 ; 4-byte Folded Reload
	buffer_load_dword v49, off, s[64:67], 0 offset:620 ; 4-byte Folded Reload
	s_nop 0
	buffer_store_dword v68, off, s[64:67], 0 offset:16 ; 4-byte Folded Spill
	s_nop 0
	buffer_store_dword v69, off, s[64:67], 0 offset:20 ; 4-byte Folded Spill
	buffer_store_dword v70, off, s[64:67], 0 offset:24 ; 4-byte Folded Spill
	;; [unrolled: 1-line block ×3, first 2 shown]
	v_mov_b32_e32 v71, v67
	v_mov_b32_e32 v70, v43
	;; [unrolled: 1-line block ×5, first 2 shown]
	buffer_load_dword v41, off, s[64:67], 0 offset:248 ; 4-byte Folded Reload
	buffer_load_dword v42, off, s[64:67], 0 offset:252 ; 4-byte Folded Reload
	v_add_f64 v[33:34], v[212:213], v[33:34]
	v_mul_f64 v[212:213], v[251:252], s[18:19]
	v_mul_f64 v[39:40], v[202:203], s[40:41]
	v_add_f64 v[33:34], v[214:215], v[33:34]
	v_mul_f64 v[214:215], v[198:199], s[42:43]
	s_waitcnt vmcnt(6)
	v_add_f64 v[37:38], v[48:49], -v[37:38]
	buffer_load_dword v48, off, s[64:67], 0 offset:608 ; 4-byte Folded Reload
	buffer_load_dword v49, off, s[64:67], 0 offset:612 ; 4-byte Folded Reload
	s_nop 0
	buffer_store_dword v72, off, s[64:67], 0 offset:232 ; 4-byte Folded Spill
	s_nop 0
	buffer_store_dword v73, off, s[64:67], 0 offset:236 ; 4-byte Folded Spill
	buffer_store_dword v74, off, s[64:67], 0 offset:240 ; 4-byte Folded Spill
	;; [unrolled: 1-line block ×3, first 2 shown]
	v_mov_b32_e32 v75, v47
	v_mov_b32_e32 v74, v46
	;; [unrolled: 1-line block ×4, first 2 shown]
	buffer_load_dword v45, off, s[64:67], 0 offset:296 ; 4-byte Folded Reload
	buffer_load_dword v46, off, s[64:67], 0 offset:300 ; 4-byte Folded Reload
	s_waitcnt vmcnt(8)
	v_add_f64 v[10:11], v[10:11], v[41:42]
	v_add_f64 v[31:32], v[37:38], v[31:32]
	v_mul_f64 v[37:38], v[198:199], s[28:29]
	v_mul_f64 v[41:42], v[190:191], s[8:9]
	;; [unrolled: 1-line block ×3, first 2 shown]
	s_mov_b32 s57, 0x3fc7851a
	s_mov_b32 s56, s24
	v_add_f64 v[10:11], v[10:11], v[33:34]
	v_mul_f64 v[33:34], v[206:207], s[26:27]
	s_waitcnt vmcnt(6)
	v_add_f64 v[29:30], v[48:49], -v[29:30]
	buffer_load_dword v47, off, s[64:67], 0 offset:600 ; 4-byte Folded Reload
	buffer_load_dword v48, off, s[64:67], 0 offset:604 ; 4-byte Folded Reload
	;; [unrolled: 1-line block ×4, first 2 shown]
	s_nop 0
	buffer_store_dword v50, off, s[64:67], 0 offset:248 ; 4-byte Folded Spill
	s_nop 0
	buffer_store_dword v51, off, s[64:67], 0 offset:252 ; 4-byte Folded Spill
	buffer_store_dword v52, off, s[64:67], 0 offset:256 ; 4-byte Folded Spill
	buffer_store_dword v53, off, s[64:67], 0 offset:260 ; 4-byte Folded Spill
	v_add_f64 v[51:52], v[210:211], v[0:1]
	v_fma_f64 v[0:1], v[198:199], s[18:19], v[208:209]
	s_waitcnt vmcnt(8)
	v_add_f64 v[45:46], v[212:213], v[45:46]
	v_mul_f64 v[212:213], v[16:17], s[48:49]
	v_mul_f64 v[49:50], v[18:19], s[50:51]
	v_add_f64 v[29:30], v[29:30], v[31:32]
	v_mul_f64 v[31:32], v[206:207], s[42:43]
	v_mov_b32_e32 v210, v249
	v_mov_b32_e32 v211, v250
	v_add_f64 v[0:1], v[0:1], v[6:7]
	v_add_f64 v[10:11], v[45:46], v[10:11]
	buffer_load_dword v45, off, s[64:67], 0 offset:264 ; 4-byte Folded Reload
	buffer_load_dword v46, off, s[64:67], 0 offset:268 ; 4-byte Folded Reload
	;; [unrolled: 1-line block ×6, first 2 shown]
	v_mov_b32_e32 v209, v59
	v_mov_b32_e32 v208, v58
	s_waitcnt vmcnt(12)
	v_add_f64 v[225:226], v[47:48], -v[225:226]
	s_waitcnt vmcnt(10)
	v_add_f64 v[41:42], v[41:42], v[65:66]
	v_mul_f64 v[47:48], v[18:19], s[52:53]
	v_add_f64 v[29:30], v[225:226], v[29:30]
	v_add_f64 v[10:11], v[41:42], v[10:11]
	v_mul_f64 v[41:42], v[210:211], s[50:51]
	s_waitcnt vmcnt(4)
	v_add_f64 v[45:46], v[45:46], -v[239:240]
	s_waitcnt vmcnt(2)
	v_add_f64 v[35:36], v[35:36], -v[212:213]
	s_waitcnt vmcnt(0)
	v_add_f64 v[25:26], v[37:38], v[25:26]
	buffer_load_dword v37, off, s[64:67], 0 offset:312 ; 4-byte Folded Reload
	buffer_load_dword v38, off, s[64:67], 0 offset:316 ; 4-byte Folded Reload
	;; [unrolled: 1-line block ×4, first 2 shown]
	v_mul_f64 v[239:240], v[14:15], s[16:17]
	v_add_f64 v[29:30], v[45:46], v[29:30]
	v_add_f64 v[8:9], v[35:36], v[8:9]
	buffer_load_dword v35, off, s[64:67], 0 offset:584 ; 4-byte Folded Reload
	buffer_load_dword v36, off, s[64:67], 0 offset:588 ; 4-byte Folded Reload
	v_add_f64 v[10:11], v[25:26], v[10:11]
	v_mul_f64 v[45:46], v[188:189], s[44:45]
	v_fma_f64 v[212:213], v[245:246], s[10:11], v[45:46]
	v_fma_f64 v[45:46], v[245:246], s[10:11], -v[45:46]
	s_waitcnt vmcnt(4)
	v_add_f64 v[37:38], v[37:38], -v[39:40]
	s_waitcnt vmcnt(2)
	v_add_f64 v[6:7], v[6:7], -v[49:50]
	v_add_f64 v[49:50], v[2:3], v[0:1]
	v_mul_f64 v[2:3], v[237:238], s[34:35]
	s_waitcnt vmcnt(0)
	v_add_f64 v[27:28], v[27:28], v[35:36]
	buffer_load_dword v35, off, s[64:67], 0 offset:552 ; 4-byte Folded Reload
	buffer_load_dword v36, off, s[64:67], 0 offset:556 ; 4-byte Folded Reload
	;; [unrolled: 1-line block ×4, first 2 shown]
	s_nop 0
	buffer_store_dword v49, off, s[64:67], 0 offset:280 ; 4-byte Folded Spill
	s_nop 0
	buffer_store_dword v50, off, s[64:67], 0 offset:284 ; 4-byte Folded Spill
	buffer_store_dword v51, off, s[64:67], 0 offset:288 ; 4-byte Folded Spill
	;; [unrolled: 1-line block ×3, first 2 shown]
	buffer_load_dword v0, off, s[64:67], 0 offset:576 ; 4-byte Folded Reload
	buffer_load_dword v1, off, s[64:67], 0 offset:580 ; 4-byte Folded Reload
	v_add_f64 v[8:9], v[6:7], v[8:9]
	v_add_f64 v[37:38], v[37:38], v[29:30]
	v_mul_f64 v[49:50], v[196:197], s[52:53]
	s_waitcnt vmcnt(8)
	v_add_f64 v[35:36], v[31:32], v[35:36]
	s_waitcnt vmcnt(6)
	v_add_f64 v[25:26], v[25:26], -v[43:44]
	s_waitcnt vmcnt(0)
	v_add_f64 v[0:1], v[4:5], v[0:1]
	v_add_f64 v[4:5], v[132:133], v[27:28]
	v_fma_f64 v[27:28], v[223:224], s[30:31], v[2:3]
	v_fma_f64 v[2:3], v[223:224], s[30:31], -v[2:3]
	v_add_f64 v[6:7], v[35:36], v[10:11]
	buffer_store_dword v6, off, s[64:67], 0 offset:296 ; 4-byte Folded Spill
	s_nop 0
	buffer_store_dword v7, off, s[64:67], 0 offset:300 ; 4-byte Folded Spill
	buffer_store_dword v8, off, s[64:67], 0 offset:304 ; 4-byte Folded Spill
	;; [unrolled: 1-line block ×3, first 2 shown]
	buffer_load_dword v6, off, s[64:67], 0 offset:352 ; 4-byte Folded Reload
	s_nop 0
	buffer_load_dword v7, off, s[64:67], 0 offset:356 ; 4-byte Folded Reload
	buffer_load_dword v10, off, s[64:67], 0 offset:592 ; 4-byte Folded Reload
	;; [unrolled: 1-line block ×3, first 2 shown]
	v_add_f64 v[0:1], v[0:1], v[4:5]
	buffer_load_dword v4, off, s[64:67], 0 offset:560 ; 4-byte Folded Reload
	buffer_load_dword v5, off, s[64:67], 0 offset:564 ; 4-byte Folded Reload
	s_nop 0
	buffer_store_dword v60, off, s[64:67], 0 offset:640 ; 4-byte Folded Spill
	s_nop 0
	buffer_store_dword v61, off, s[64:67], 0 offset:644 ; 4-byte Folded Spill
	v_add_f64 v[8:9], v[25:26], v[37:38]
	v_mul_f64 v[25:26], v[247:248], s[50:51]
	v_mul_f64 v[37:38], v[243:244], s[56:57]
	v_add_f64 v[27:28], v[134:135], v[27:28]
	v_add_f64 v[2:3], v[134:135], v[2:3]
	v_fma_f64 v[39:40], v[229:230], s[42:43], v[25:26]
	v_fma_f64 v[25:26], v[229:230], s[42:43], -v[25:26]
	v_add_f64 v[27:28], v[39:40], v[27:28]
	v_fma_f64 v[39:40], v[227:228], s[42:43], -v[41:42]
	v_add_f64 v[2:3], v[25:26], v[2:3]
	v_fma_f64 v[41:42], v[227:228], s[42:43], v[41:42]
	s_waitcnt vmcnt(6)
	v_add_f64 v[6:7], v[6:7], -v[47:48]
	s_waitcnt vmcnt(4)
	v_add_f64 v[10:11], v[216:217], v[10:11]
	v_fma_f64 v[47:48], v[235:236], s[18:19], v[37:38]
	s_waitcnt vmcnt(2)
	v_add_f64 v[4:5], v[218:219], v[4:5]
	v_mul_f64 v[35:36], v[60:61], s[34:35]
	v_fma_f64 v[216:217], v[253:254], s[26:27], v[49:50]
	v_fma_f64 v[37:38], v[235:236], s[18:19], -v[37:38]
	v_add_f64 v[0:1], v[10:11], v[0:1]
	buffer_load_dword v10, off, s[64:67], 0 offset:520 ; 4-byte Folded Reload
	buffer_load_dword v11, off, s[64:67], 0 offset:524 ; 4-byte Folded Reload
	;; [unrolled: 1-line block ×4, first 2 shown]
	v_fma_f64 v[43:44], v[221:222], s[30:31], -v[35:36]
	v_add_f64 v[27:28], v[47:48], v[27:28]
	v_add_f64 v[2:3], v[37:38], v[2:3]
	v_fma_f64 v[37:38], v[198:199], s[8:9], -v[239:240]
	v_fma_f64 v[35:36], v[221:222], s[30:31], v[35:36]
	v_add_f64 v[0:1], v[4:5], v[0:1]
	buffer_load_dword v4, off, s[64:67], 0  ; 4-byte Folded Reload
	buffer_load_dword v5, off, s[64:67], 0 offset:4 ; 4-byte Folded Reload
	v_add_f64 v[43:44], v[132:133], v[43:44]
	v_add_f64 v[27:28], v[212:213], v[27:28]
	v_add_f64 v[2:3], v[45:46], v[2:3]
	v_mul_f64 v[45:46], v[60:61], s[60:61]
	v_add_f64 v[35:36], v[132:133], v[35:36]
	v_mul_f64 v[59:60], v[18:19], s[46:47]
	v_add_f64 v[39:40], v[39:40], v[43:44]
	;; [unrolled: 2-line block ×4, first 2 shown]
	v_mul_f64 v[41:42], v[188:189], s[24:25]
	v_fma_f64 v[218:219], v[192:193], s[28:29], v[43:44]
	v_fma_f64 v[25:26], v[190:191], s[28:29], -v[216:217]
	v_add_f64 v[27:28], v[218:219], v[27:28]
	s_waitcnt vmcnt(4)
	v_add_f64 v[10:11], v[33:34], v[10:11]
	s_waitcnt vmcnt(2)
	v_add_f64 v[33:34], v[231:232], v[29:30]
	buffer_load_dword v29, off, s[64:67], 0 offset:272 ; 4-byte Folded Reload
	buffer_load_dword v30, off, s[64:67], 0 offset:276 ; 4-byte Folded Reload
	s_nop 0
	buffer_store_dword v76, off, s[64:67], 0 ; 4-byte Folded Spill
	buffer_store_dword v77, off, s[64:67], 0 offset:264 ; 4-byte Folded Spill
	buffer_store_dword v78, off, s[64:67], 0 offset:272 ; 4-byte Folded Spill
	v_mov_b32_e32 v79, v57
	v_mov_b32_e32 v78, v56
	;; [unrolled: 1-line block ×4, first 2 shown]
	s_waitcnt vmcnt(5)
	v_add_f64 v[4:5], v[22:23], v[4:5]
	v_mul_f64 v[22:23], v[208:209], s[56:57]
	v_add_f64 v[0:1], v[33:34], v[0:1]
	v_mul_f64 v[53:54], v[196:197], s[36:37]
	v_mul_f64 v[57:58], v[194:195], s[36:37]
	v_add_f64 v[0:1], v[4:5], v[0:1]
	v_mul_f64 v[4:5], v[194:195], s[52:53]
	v_fma_f64 v[249:250], v[251:252], s[22:23], -v[57:58]
	v_fma_f64 v[225:226], v[251:252], s[26:27], -v[4:5]
	v_fma_f64 v[4:5], v[251:252], s[26:27], v[4:5]
	s_waitcnt vmcnt(3)
	v_add_f64 v[33:34], v[214:215], v[29:30]
	v_mov_b32_e32 v30, v62
	v_mov_b32_e32 v31, v63
	v_mul_f64 v[47:48], v[30:31], s[44:45]
	v_fma_f64 v[214:215], v[233:234], s[18:19], -v[22:23]
	v_fma_f64 v[22:23], v[233:234], s[18:19], v[22:23]
	v_mov_b32_e32 v29, v24
	v_mov_b32_e32 v24, v64
	v_add_f64 v[0:1], v[33:34], v[0:1]
	v_fma_f64 v[212:213], v[241:242], s[10:11], -v[47:48]
	v_add_f64 v[39:40], v[214:215], v[39:40]
	v_mul_f64 v[214:215], v[16:17], s[16:17]
	v_fma_f64 v[47:48], v[241:242], s[10:11], v[47:48]
	v_add_f64 v[22:23], v[22:23], v[35:36]
	v_fma_f64 v[35:36], v[245:246], s[18:19], v[41:42]
	v_add_f64 v[39:40], v[212:213], v[39:40]
	v_fma_f64 v[231:232], v[204:205], s[8:9], v[214:215]
	v_mul_f64 v[212:213], v[18:19], s[40:41]
	v_add_f64 v[22:23], v[47:48], v[22:23]
	v_mul_f64 v[47:48], v[202:203], s[44:45]
	v_add_f64 v[39:40], v[225:226], v[39:40]
	v_add_f64 v[218:219], v[231:232], v[27:28]
	v_add_f64 v[27:28], v[6:7], v[8:9]
	v_mul_f64 v[6:7], v[237:238], s[60:61]
	v_fma_f64 v[33:34], v[12:13], s[22:23], v[212:213]
	v_add_f64 v[4:5], v[4:5], v[22:23]
	v_mul_f64 v[225:226], v[20:21], s[40:41]
	v_fma_f64 v[22:23], v[192:193], s[10:11], v[47:48]
	v_add_f64 v[39:40], v[25:26], v[39:40]
	v_add_f64 v[25:26], v[10:11], v[0:1]
	v_fma_f64 v[0:1], v[253:254], s[26:27], -v[49:50]
	v_mul_f64 v[49:50], v[243:244], s[50:51]
	v_add_f64 v[218:219], v[33:34], v[218:219]
	v_fma_f64 v[33:34], v[12:13], s[22:23], -v[212:213]
	v_fma_f64 v[8:9], v[206:207], s[22:23], -v[225:226]
	v_fma_f64 v[61:62], v[206:207], s[22:23], v[225:226]
	v_add_f64 v[10:11], v[37:38], v[39:40]
	v_fma_f64 v[37:38], v[192:193], s[28:29], -v[43:44]
	v_mul_f64 v[43:44], v[247:248], s[16:17]
	v_fma_f64 v[39:40], v[223:224], s[26:27], v[6:7]
	v_add_f64 v[0:1], v[0:1], v[2:3]
	v_fma_f64 v[2:3], v[204:205], s[8:9], -v[214:215]
	v_mul_f64 v[214:215], v[210:211], s[16:17]
	v_fma_f64 v[231:232], v[235:236], s[42:43], v[49:50]
	v_fma_f64 v[6:7], v[223:224], s[26:27], -v[6:7]
	v_mul_f64 v[225:226], v[20:21], s[46:47]
	v_fma_f64 v[212:213], v[229:230], s[8:9], v[43:44]
	v_add_f64 v[39:40], v[134:135], v[39:40]
	v_add_f64 v[0:1], v[37:38], v[0:1]
	v_fma_f64 v[37:38], v[221:222], s[26:27], -v[45:46]
	v_fma_f64 v[51:52], v[227:228], s[8:9], -v[214:215]
	v_mul_f64 v[20:21], v[20:21], s[24:25]
	v_add_f64 v[39:40], v[212:213], v[39:40]
	v_mul_f64 v[212:213], v[208:209], s[50:51]
	v_add_f64 v[37:38], v[132:133], v[37:38]
	v_add_f64 v[0:1], v[2:3], v[0:1]
	v_mul_f64 v[2:3], v[14:15], s[54:55]
	v_mul_f64 v[14:15], v[14:15], s[40:41]
	v_add_f64 v[39:40], v[231:232], v[39:40]
	v_mul_f64 v[231:232], v[30:31], s[24:25]
	v_fma_f64 v[55:56], v[233:234], s[42:43], -v[212:213]
	v_add_f64 v[37:38], v[51:52], v[37:38]
	v_fma_f64 v[51:52], v[253:254], s[22:23], v[53:54]
	v_add_f64 v[35:36], v[35:36], v[39:40]
	v_fma_f64 v[39:40], v[190:191], s[28:29], v[216:217]
	v_fma_f64 v[216:217], v[241:242], s[18:19], -v[231:232]
	v_add_f64 v[37:38], v[55:56], v[37:38]
	v_mul_f64 v[55:56], v[16:17], s[54:55]
	v_add_f64 v[35:36], v[51:52], v[35:36]
	v_fma_f64 v[51:52], v[198:199], s[8:9], v[239:240]
	v_mul_f64 v[239:240], v[200:201], s[44:45]
	v_add_f64 v[37:38], v[216:217], v[37:38]
	v_add_f64 v[4:5], v[39:40], v[4:5]
	v_fma_f64 v[39:40], v[204:205], s[30:31], v[55:56]
	v_add_f64 v[216:217], v[8:9], v[10:11]
	v_fma_f64 v[8:9], v[221:222], s[26:27], v[45:46]
	v_add_f64 v[22:23], v[22:23], v[35:36]
	v_fma_f64 v[45:46], v[235:236], s[42:43], -v[49:50]
	v_fma_f64 v[35:36], v[190:191], s[10:11], -v[239:240]
	v_add_f64 v[37:38], v[249:250], v[37:38]
	v_add_f64 v[4:5], v[51:52], v[4:5]
	v_fma_f64 v[51:52], v[12:13], s[28:29], v[59:60]
	v_mul_f64 v[49:50], v[237:238], s[48:49]
	v_fma_f64 v[249:250], v[198:199], s[30:31], -v[2:3]
	v_add_f64 v[22:23], v[39:40], v[22:23]
	v_add_f64 v[8:9], v[132:133], v[8:9]
	v_fma_f64 v[40:41], v[245:246], s[18:19], -v[41:42]
	v_add_f64 v[63:64], v[35:36], v[37:38]
	v_add_f64 v[38:39], v[33:34], v[0:1]
	v_add_f64 v[36:37], v[61:62], v[4:5]
	v_fma_f64 v[0:1], v[229:230], s[8:9], -v[43:44]
	v_add_f64 v[4:5], v[134:135], v[6:7]
	v_add_f64 v[22:23], v[51:52], v[22:23]
	v_fma_f64 v[43:44], v[204:205], s[30:31], -v[55:56]
	v_fma_f64 v[51:52], v[227:228], s[8:9], v[214:215]
	v_fma_f64 v[55:56], v[223:224], s[28:29], v[49:50]
	v_add_f64 v[33:34], v[249:250], v[63:64]
	v_fma_f64 v[6:7], v[12:13], s[28:29], -v[59:60]
	v_add_f64 v[59:60], v[134:135], v[142:143]
	v_add_f64 v[0:1], v[0:1], v[4:5]
	v_fma_f64 v[4:5], v[192:193], s[10:11], -v[47:48]
	v_fma_f64 v[47:48], v[253:254], s[22:23], -v[53:54]
	v_mul_f64 v[53:54], v[247:248], s[60:61]
	v_add_f64 v[61:62], v[132:133], v[140:141]
	v_add_f64 v[8:9], v[51:52], v[8:9]
	v_mul_f64 v[51:52], v[243:244], s[34:35]
	v_add_f64 v[55:56], v[134:135], v[55:56]
	v_add_f64 v[0:1], v[45:46], v[0:1]
	v_fma_f64 v[45:46], v[233:234], s[42:43], v[212:213]
	v_add_f64 v[59:60], v[59:60], v[146:147]
	v_fma_f64 v[63:64], v[229:230], s[26:27], v[53:54]
	;; [unrolled: 2-line block ×3, first 2 shown]
	v_fma_f64 v[65:66], v[235:236], s[30:31], v[51:52]
	buffer_load_dword v212, off, s[64:67], 0 offset:456 ; 4-byte Folded Reload
	v_add_f64 v[0:1], v[40:41], v[0:1]
	v_fma_f64 v[40:41], v[241:242], s[18:19], v[231:232]
	v_add_f64 v[8:9], v[45:46], v[8:9]
	v_mul_f64 v[45:46], v[188:189], s[16:17]
	v_add_f64 v[55:56], v[63:64], v[55:56]
	v_fma_f64 v[49:50], v[223:224], s[28:29], -v[49:50]
	v_fma_f64 v[53:54], v[229:230], s[26:27], -v[53:54]
	;; [unrolled: 1-line block ×3, first 2 shown]
	v_add_f64 v[0:1], v[47:48], v[0:1]
	v_fma_f64 v[47:48], v[251:252], s[22:23], v[57:58]
	v_add_f64 v[57:58], v[59:60], v[138:139]
	v_add_f64 v[59:60], v[61:62], v[136:137]
	;; [unrolled: 1-line block ×3, first 2 shown]
	v_mul_f64 v[40:41], v[196:197], s[20:21]
	v_fma_f64 v[61:62], v[245:246], s[8:9], v[45:46]
	v_add_f64 v[55:56], v[65:66], v[55:56]
	v_add_f64 v[0:1], v[4:5], v[0:1]
	v_fma_f64 v[4:5], v[190:191], s[10:11], v[239:240]
	v_add_f64 v[57:58], v[57:58], v[150:151]
	v_add_f64 v[59:60], v[59:60], v[148:149]
	;; [unrolled: 1-line block ×3, first 2 shown]
	v_mul_f64 v[47:48], v[202:203], s[50:51]
	v_fma_f64 v[63:64], v[253:254], s[10:11], v[40:41]
	v_add_f64 v[55:56], v[61:62], v[55:56]
	v_add_f64 v[0:1], v[43:44], v[0:1]
	v_mul_f64 v[65:66], v[210:211], s[60:61]
	v_add_f64 v[42:43], v[57:58], v[154:155]
	v_add_f64 v[57:58], v[59:60], v[152:153]
	;; [unrolled: 1-line block ×3, first 2 shown]
	v_fma_f64 v[59:60], v[192:193], s[42:43], v[47:48]
	v_mul_f64 v[8:9], v[16:17], s[40:41]
	v_add_f64 v[55:56], v[63:64], v[55:56]
	v_add_f64 v[16:17], v[6:7], v[0:1]
	;; [unrolled: 1-line block ×6, first 2 shown]
	v_mul_f64 v[2:3], v[18:19], s[24:25]
	v_mul_f64 v[138:139], v[208:209], s[34:35]
	v_add_f64 v[18:19], v[59:60], v[55:56]
	buffer_load_dword v55, off, s[64:67], 0 offset:640 ; 4-byte Folded Reload
	buffer_load_dword v56, off, s[64:67], 0 offset:644 ; 4-byte Folded Reload
	v_fma_f64 v[134:135], v[227:228], s[26:27], v[65:66]
	v_add_f64 v[6:7], v[6:7], v[162:163]
	v_add_f64 v[42:43], v[42:43], v[160:161]
	v_fma_f64 v[65:66], v[227:228], s[26:27], -v[65:66]
	v_add_f64 v[49:50], v[53:54], v[49:50]
	v_mul_f64 v[63:64], v[30:31], s[16:17]
	v_fma_f64 v[53:54], v[233:234], s[30:31], v[138:139]
	v_fma_f64 v[44:45], v[245:246], s[8:9], -v[45:46]
	v_mul_f64 v[61:62], v[194:195], s[20:21]
	v_add_f64 v[6:7], v[6:7], v[166:167]
	v_add_f64 v[42:43], v[42:43], v[164:165]
	v_fma_f64 v[40:41], v[253:254], s[10:11], -v[40:41]
	v_add_f64 v[49:50], v[51:52], v[49:50]
	v_fma_f64 v[51:52], v[241:242], s[8:9], v[63:64]
	v_fma_f64 v[63:64], v[241:242], s[8:9], -v[63:64]
	v_mul_f64 v[59:60], v[200:201], s[50:51]
	v_fma_f64 v[46:47], v[192:193], s[42:43], -v[47:48]
	v_add_f64 v[6:7], v[6:7], v[170:171]
	v_add_f64 v[42:43], v[42:43], v[168:169]
	v_fma_f64 v[4:5], v[204:205], s[22:23], v[8:9]
	v_add_f64 v[44:45], v[44:45], v[49:50]
	v_fma_f64 v[49:50], v[251:252], s[10:11], v[61:62]
	v_fma_f64 v[8:9], v[204:205], s[22:23], -v[8:9]
	v_fma_f64 v[0:1], v[206:207], s[28:29], v[225:226]
	v_fma_f64 v[10:11], v[206:207], s[28:29], -v[225:226]
	v_add_f64 v[6:7], v[6:7], v[174:175]
	v_add_f64 v[42:43], v[42:43], v[172:173]
	;; [unrolled: 1-line block ×4, first 2 shown]
	v_fma_f64 v[44:45], v[190:191], s[42:43], v[59:60]
	v_add_f64 v[6:7], v[6:7], v[178:179]
	v_add_f64 v[42:43], v[42:43], v[176:177]
	;; [unrolled: 1-line block ×3, first 2 shown]
	v_fma_f64 v[46:47], v[198:199], s[22:23], v[14:15]
	v_fma_f64 v[14:15], v[198:199], s[22:23], -v[14:15]
	v_add_f64 v[6:7], v[6:7], v[126:127]
	v_add_f64 v[42:43], v[42:43], v[124:125]
	;; [unrolled: 1-line block ×3, first 2 shown]
	v_fma_f64 v[40:41], v[206:207], s[18:19], v[20:21]
	v_add_f64 v[6:7], v[6:7], v[130:131]
	v_add_f64 v[42:43], v[42:43], v[128:129]
	;; [unrolled: 1-line block ×6, first 2 shown]
	v_mov_b32_e32 v67, v71
	s_waitcnt vmcnt(0)
	v_mul_f64 v[55:56], v[55:56], s[48:49]
	v_fma_f64 v[136:137], v[221:222], s[28:29], v[55:56]
	v_fma_f64 v[55:56], v[221:222], s[28:29], -v[55:56]
	v_add_f64 v[136:137], v[132:133], v[136:137]
	v_add_f64 v[55:56], v[132:133], v[55:56]
	;; [unrolled: 1-line block ×3, first 2 shown]
	v_fma_f64 v[134:135], v[233:234], s[30:31], -v[138:139]
	v_add_f64 v[55:56], v[65:66], v[55:56]
	buffer_load_dword v65, off, s[64:67], 0 offset:408 ; 4-byte Folded Reload
	buffer_load_dword v72, off, s[64:67], 0 offset:232 ; 4-byte Folded Reload
	;; [unrolled: 1-line block ×9, first 2 shown]
	v_add_f64 v[53:54], v[53:54], v[132:133]
	v_add_f64 v[55:56], v[134:135], v[55:56]
	;; [unrolled: 1-line block ×3, first 2 shown]
	v_fma_f64 v[53:54], v[251:252], s[10:11], -v[61:62]
	v_add_f64 v[55:56], v[63:64], v[55:56]
	v_mov_b32_e32 v64, v24
	v_mov_b32_e32 v24, v29
	v_add_f64 v[48:49], v[49:50], v[51:52]
	v_fma_f64 v[50:51], v[190:191], s[42:43], -v[59:60]
	v_add_f64 v[52:53], v[53:54], v[55:56]
	v_add_f64 v[44:45], v[44:45], v[48:49]
	;; [unrolled: 1-line block ×3, first 2 shown]
	v_fma_f64 v[50:51], v[12:13], s[18:19], -v[2:3]
	v_fma_f64 v[12:13], v[12:13], s[18:19], v[2:3]
	v_add_f64 v[44:45], v[46:47], v[44:45]
	v_fma_f64 v[46:47], v[206:207], s[18:19], -v[20:21]
	v_add_f64 v[48:49], v[14:15], v[48:49]
	v_add_f64 v[4:5], v[50:51], v[8:9]
	buffer_load_dword v50, off, s[64:67], 0 offset:248 ; 4-byte Folded Reload
	buffer_load_dword v51, off, s[64:67], 0 offset:252 ; 4-byte Folded Reload
	;; [unrolled: 1-line block ×8, first 2 shown]
	v_add_f64 v[14:15], v[0:1], v[57:58]
	v_mul_lo_u16_e32 v0, 17, v212
	v_mov_b32_e32 v54, v76
	v_add_f64 v[2:3], v[40:41], v[44:45]
	v_lshlrev_b32_e32 v0, 4, v0
	v_mov_b32_e32 v55, v77
	v_mov_b32_e32 v56, v78
	;; [unrolled: 1-line block ×3, first 2 shown]
	buffer_load_dword v78, off, s[64:67], 0 offset:272 ; 4-byte Folded Reload
	buffer_load_dword v77, off, s[64:67], 0 offset:264 ; 4-byte Folded Reload
	buffer_load_dword v76, off, s[64:67], 0 ; 4-byte Folded Reload
	v_add_f64 v[20:21], v[10:11], v[33:34]
	v_add_f64 v[12:13], v[12:13], v[18:19]
	;; [unrolled: 1-line block ×3, first 2 shown]
	s_waitcnt vmcnt(3)
	v_add_f64 v[8:9], v[6:7], v[31:32]
	v_add_f64 v[6:7], v[42:43], v[29:30]
	ds_write_b128 v0, v[6:9]
	ds_write_b128 v0, v[2:5] offset:16
	ds_write_b128 v0, v[14:17] offset:32
	;; [unrolled: 1-line block ×4, first 2 shown]
	buffer_load_dword v1, off, s[64:67], 0 offset:296 ; 4-byte Folded Reload
	buffer_load_dword v2, off, s[64:67], 0 offset:300 ; 4-byte Folded Reload
	;; [unrolled: 1-line block ×4, first 2 shown]
	s_waitcnt vmcnt(0)
	ds_write_b128 v0, v[1:4] offset:80
	buffer_load_dword v1, off, s[64:67], 0 offset:280 ; 4-byte Folded Reload
	buffer_load_dword v2, off, s[64:67], 0 offset:284 ; 4-byte Folded Reload
	;; [unrolled: 1-line block ×4, first 2 shown]
	s_waitcnt vmcnt(0)
	ds_write_b128 v0, v[1:4] offset:96
	buffer_load_dword v208, off, s[64:67], 0 offset:384 ; 4-byte Folded Reload
	buffer_load_dword v209, off, s[64:67], 0 offset:388 ; 4-byte Folded Reload
	;; [unrolled: 1-line block ×7, first 2 shown]
	s_waitcnt vmcnt(0)
	ds_write_b128 v0, v[1:4] offset:112
	buffer_load_dword v1, off, s[64:67], 0 offset:472 ; 4-byte Folded Reload
	buffer_load_dword v2, off, s[64:67], 0 offset:476 ; 4-byte Folded Reload
	buffer_load_dword v3, off, s[64:67], 0 offset:480 ; 4-byte Folded Reload
	buffer_load_dword v4, off, s[64:67], 0 offset:484 ; 4-byte Folded Reload
	s_waitcnt vmcnt(0)
	ds_write_b128 v0, v[1:4] offset:128
	buffer_load_dword v1, off, s[64:67], 0 offset:440 ; 4-byte Folded Reload
	buffer_load_dword v2, off, s[64:67], 0 offset:444 ; 4-byte Folded Reload
	buffer_load_dword v3, off, s[64:67], 0 offset:448 ; 4-byte Folded Reload
	buffer_load_dword v4, off, s[64:67], 0 offset:452 ; 4-byte Folded Reload
	;; [unrolled: 6-line block ×4, first 2 shown]
	s_waitcnt vmcnt(0)
	ds_write_b128 v0, v[1:4] offset:176
	ds_write_b128 v0, v[184:187] offset:192
	;; [unrolled: 1-line block ×4, first 2 shown]
	buffer_load_dword v213, off, s[64:67], 0 offset:392 ; 4-byte Folded Reload
	buffer_load_dword v214, off, s[64:67], 0 offset:396 ; 4-byte Folded Reload
	;; [unrolled: 1-line block ×4, first 2 shown]
	ds_write_b128 v0, v[20:23] offset:240
	ds_write_b128 v0, v[10:13] offset:256
.LBB0_17:
	s_or_b64 exec, exec, s[38:39]
	s_waitcnt vmcnt(0) lgkmcnt(0)
	s_barrier
	ds_read_b128 v[0:3], v220
	ds_read_b128 v[4:7], v220 offset:1904
	ds_read_b128 v[8:11], v220 offset:11424
	;; [unrolled: 1-line block ×11, first 2 shown]
	s_waitcnt lgkmcnt(9)
	v_mul_f64 v[29:30], v[56:57], v[10:11]
	v_mul_f64 v[31:32], v[56:57], v[8:9]
	buffer_load_dword v60, off, s[64:67], 0 offset:48 ; 4-byte Folded Reload
	buffer_load_dword v61, off, s[64:67], 0 offset:52 ; 4-byte Folded Reload
	;; [unrolled: 1-line block ×8, first 2 shown]
	s_waitcnt lgkmcnt(8)
	v_mul_f64 v[33:34], v[52:53], v[14:15]
	v_mul_f64 v[40:41], v[52:53], v[12:13]
	v_fma_f64 v[8:9], v[54:55], v[8:9], v[29:30]
	v_fma_f64 v[10:11], v[54:55], v[10:11], -v[31:32]
	v_fma_f64 v[29:30], v[50:51], v[12:13], v[33:34]
	v_fma_f64 v[31:32], v[50:51], v[14:15], -v[40:41]
	v_add_f64 v[12:13], v[0:1], -v[8:9]
	v_add_f64 v[14:15], v[2:3], -v[10:11]
	s_waitcnt vmcnt(4) lgkmcnt(5)
	v_mul_f64 v[42:43], v[62:63], v[27:28]
	s_waitcnt vmcnt(0) lgkmcnt(4)
	v_mul_f64 v[46:47], v[58:59], v[38:39]
	v_mul_f64 v[48:49], v[58:59], v[36:37]
	;; [unrolled: 1-line block ×3, first 2 shown]
	v_fma_f64 v[33:34], v[60:61], v[25:26], v[42:43]
	v_fma_f64 v[42:43], v[56:57], v[36:37], v[46:47]
	v_fma_f64 v[52:53], v[56:57], v[38:39], -v[48:49]
	buffer_load_dword v48, off, s[64:67], 0 offset:64 ; 4-byte Folded Reload
	buffer_load_dword v49, off, s[64:67], 0 offset:68 ; 4-byte Folded Reload
	;; [unrolled: 1-line block ×8, first 2 shown]
	v_fma_f64 v[40:41], v[60:61], v[27:28], -v[44:45]
	v_add_f64 v[25:26], v[4:5], -v[29:30]
	v_add_f64 v[27:28], v[6:7], -v[31:32]
	s_waitcnt vmcnt(0) lgkmcnt(0)
	s_barrier
	v_mul_f64 v[35:36], v[50:51], v[134:135]
	v_mul_f64 v[37:38], v[50:51], v[132:133]
	;; [unrolled: 1-line block ×4, first 2 shown]
	v_add_f64 v[50:51], v[18:19], -v[40:41]
	v_fma_f64 v[8:9], v[48:49], v[132:133], v[35:36]
	v_fma_f64 v[10:11], v[48:49], v[134:135], -v[37:38]
	v_fma_f64 v[29:30], v[54:55], v[136:137], v[44:45]
	v_fma_f64 v[54:55], v[54:55], v[138:139], -v[46:47]
	v_add_f64 v[48:49], v[16:17], -v[33:34]
	v_fma_f64 v[36:37], v[0:1], 2.0, -v[12:13]
	v_fma_f64 v[38:39], v[2:3], 2.0, -v[14:15]
	v_add_f64 v[0:1], v[20:21], -v[42:43]
	v_add_f64 v[2:3], v[22:23], -v[52:53]
	v_fma_f64 v[44:45], v[4:5], 2.0, -v[25:26]
	v_fma_f64 v[46:47], v[6:7], 2.0, -v[27:28]
	v_add_f64 v[4:5], v[124:125], -v[8:9]
	v_add_f64 v[6:7], v[126:127], -v[10:11]
	;; [unrolled: 1-line block ×4, first 2 shown]
	v_fma_f64 v[16:17], v[16:17], 2.0, -v[48:49]
	v_fma_f64 v[18:19], v[18:19], 2.0, -v[50:51]
	;; [unrolled: 1-line block ×8, first 2 shown]
	ds_write_b128 v76, v[36:39]
	ds_write_b128 v76, v[12:15] offset:272
	ds_write_b128 v77, v[44:47]
	ds_write_b128 v77, v[25:28] offset:272
	ds_write_b128 v78, v[16:19]
	ds_write_b128 v78, v[48:51] offset:272
	ds_write_b128 v64, v[20:23]
	ds_write_b128 v64, v[0:3] offset:272
	ds_write_b128 v24, v[8:11]
	ds_write_b128 v24, v[4:7] offset:272
	ds_write_b128 v65, v[40:43]
	ds_write_b128 v65, v[32:35] offset:272
	s_waitcnt lgkmcnt(0)
	s_barrier
	ds_read_b128 v[44:47], v220
	ds_read_b128 v[132:135], v220 offset:3264
	ds_read_b128 v[128:131], v220 offset:6528
	;; [unrolled: 1-line block ×6, first 2 shown]
	s_and_saveexec_b64 s[8:9], s[2:3]
	s_cbranch_execz .LBB0_19
; %bb.18:
	ds_read_b128 v[0:3], v220 offset:1904
	ds_read_b128 v[8:11], v220 offset:5168
	;; [unrolled: 1-line block ×7, first 2 shown]
.LBB0_19:
	s_or_b64 exec, exec, s[8:9]
	buffer_load_dword v22, off, s[64:67], 0 offset:160 ; 4-byte Folded Reload
	buffer_load_dword v23, off, s[64:67], 0 offset:164 ; 4-byte Folded Reload
	;; [unrolled: 1-line block ×12, first 2 shown]
	s_waitcnt lgkmcnt(5)
	v_mul_f64 v[12:13], v[82:83], v[134:135]
	v_mul_f64 v[14:15], v[82:83], v[132:133]
	s_mov_b32 s18, 0x37e14327
	s_mov_b32 s10, 0x36b3c0b5
	;; [unrolled: 1-line block ×6, first 2 shown]
	v_fma_f64 v[12:13], v[80:81], v[132:133], v[12:13]
	v_fma_f64 v[14:15], v[80:81], v[134:135], -v[14:15]
	s_mov_b32 s8, 0x429ad128
	s_mov_b32 s9, 0xbfebfeb5
	;; [unrolled: 1-line block ×14, first 2 shown]
	s_waitcnt vmcnt(8) lgkmcnt(4)
	v_mul_f64 v[16:17], v[24:25], v[130:131]
	v_mul_f64 v[18:19], v[24:25], v[128:129]
	s_waitcnt vmcnt(0) lgkmcnt(3)
	v_mul_f64 v[25:26], v[78:79], v[54:55]
	v_mul_f64 v[27:28], v[78:79], v[52:53]
	buffer_load_dword v78, off, s[64:67], 0 offset:128 ; 4-byte Folded Reload
	buffer_load_dword v79, off, s[64:67], 0 offset:132 ; 4-byte Folded Reload
	;; [unrolled: 1-line block ×8, first 2 shown]
	s_waitcnt lgkmcnt(0)
	v_mul_f64 v[20:21], v[138:139], v[126:127]
	v_fma_f64 v[16:17], v[22:23], v[128:129], v[16:17]
	v_fma_f64 v[18:19], v[22:23], v[130:131], -v[18:19]
	v_mul_f64 v[22:23], v[138:139], v[124:125]
	v_fma_f64 v[25:26], v[76:77], v[52:53], v[25:26]
	v_fma_f64 v[27:28], v[76:77], v[54:55], -v[27:28]
	s_waitcnt vmcnt(0)
	s_barrier
	v_fma_f64 v[20:21], v[136:137], v[124:125], v[20:21]
	v_fma_f64 v[22:23], v[136:137], v[126:127], -v[22:23]
	v_add_f64 v[52:53], v[14:15], v[22:23]
	v_add_f64 v[14:15], v[14:15], -v[22:23]
	v_mul_f64 v[29:30], v[80:81], v[58:59]
	v_mul_f64 v[36:37], v[80:81], v[56:57]
	;; [unrolled: 1-line block ×4, first 2 shown]
	v_fma_f64 v[29:30], v[78:79], v[56:57], v[29:30]
	v_fma_f64 v[36:37], v[78:79], v[58:59], -v[36:37]
	v_fma_f64 v[38:39], v[62:63], v[48:49], v[38:39]
	v_fma_f64 v[48:49], v[62:63], v[50:51], -v[60:61]
	v_add_f64 v[50:51], v[12:13], v[20:21]
	v_add_f64 v[12:13], v[12:13], -v[20:21]
	v_add_f64 v[20:21], v[16:17], v[29:30]
	v_add_f64 v[22:23], v[18:19], v[36:37]
	v_add_f64 v[16:17], v[16:17], -v[29:30]
	v_add_f64 v[18:19], v[18:19], -v[36:37]
	v_add_f64 v[29:30], v[25:26], v[38:39]
	v_add_f64 v[36:37], v[27:28], v[48:49]
	v_add_f64 v[25:26], v[38:39], -v[25:26]
	;; [unrolled: 4-line block ×3, first 2 shown]
	v_add_f64 v[56:57], v[22:23], -v[52:53]
	v_add_f64 v[50:51], v[50:51], -v[29:30]
	;; [unrolled: 1-line block ×5, first 2 shown]
	v_add_f64 v[58:59], v[25:26], v[16:17]
	v_add_f64 v[60:61], v[27:28], v[18:19]
	v_add_f64 v[62:63], v[25:26], -v[16:17]
	v_add_f64 v[64:65], v[27:28], -v[18:19]
	v_add_f64 v[29:30], v[29:30], v[38:39]
	v_add_f64 v[36:37], v[36:37], v[48:49]
	v_add_f64 v[16:17], v[16:17], -v[12:13]
	v_add_f64 v[18:19], v[18:19], -v[14:15]
	;; [unrolled: 1-line block ×4, first 2 shown]
	v_add_f64 v[38:39], v[58:59], v[12:13]
	v_add_f64 v[48:49], v[60:61], v[14:15]
	;; [unrolled: 1-line block ×4, first 2 shown]
	v_mul_f64 v[44:45], v[50:51], s[18:19]
	v_mul_f64 v[46:47], v[52:53], s[18:19]
	;; [unrolled: 1-line block ×8, first 2 shown]
	v_fma_f64 v[29:30], v[29:30], s[28:29], v[12:13]
	v_fma_f64 v[36:37], v[36:37], s[28:29], v[14:15]
	;; [unrolled: 1-line block ×4, first 2 shown]
	v_fma_f64 v[50:51], v[54:55], s[16:17], -v[50:51]
	v_fma_f64 v[52:53], v[56:57], s[16:17], -v[52:53]
	v_fma_f64 v[44:45], v[54:55], s[20:21], -v[44:45]
	v_fma_f64 v[46:47], v[56:57], s[20:21], -v[46:47]
	v_fma_f64 v[54:55], v[25:26], s[30:31], v[58:59]
	v_fma_f64 v[56:57], v[27:28], s[30:31], v[60:61]
	v_fma_f64 v[25:26], v[25:26], s[26:27], -v[62:63]
	v_fma_f64 v[27:28], v[27:28], s[26:27], -v[64:65]
	;; [unrolled: 1-line block ×4, first 2 shown]
	v_add_f64 v[58:59], v[20:21], v[29:30]
	v_add_f64 v[60:61], v[22:23], v[36:37]
	v_fma_f64 v[54:55], v[38:39], s[24:25], v[54:55]
	v_fma_f64 v[56:57], v[48:49], s[24:25], v[56:57]
	v_add_f64 v[50:51], v[50:51], v[29:30]
	v_add_f64 v[29:30], v[44:45], v[29:30]
	;; [unrolled: 1-line block ×3, first 2 shown]
	v_fma_f64 v[44:45], v[48:49], s[24:25], v[27:28]
	v_fma_f64 v[62:63], v[38:39], s[24:25], v[25:26]
	v_add_f64 v[52:53], v[52:53], v[36:37]
	v_fma_f64 v[36:37], v[48:49], s[24:25], v[18:19]
	v_fma_f64 v[38:39], v[38:39], s[24:25], v[16:17]
	v_add_f64 v[16:17], v[56:57], v[58:59]
	v_add_f64 v[18:19], v[60:61], -v[54:55]
	v_add_f64 v[48:49], v[58:59], -v[56:57]
	v_add_f64 v[20:21], v[44:45], v[29:30]
	v_add_f64 v[22:23], v[46:47], -v[62:63]
	v_add_f64 v[44:45], v[29:30], -v[44:45]
	;; [unrolled: 1-line block ×3, first 2 shown]
	v_add_f64 v[27:28], v[38:39], v[52:53]
	v_add_f64 v[36:37], v[36:37], v[50:51]
	v_add_f64 v[38:39], v[52:53], -v[38:39]
	v_add_f64 v[46:47], v[62:63], v[46:47]
	v_add_f64 v[50:51], v[54:55], v[60:61]
	ds_write_b128 v209, v[12:15]
	ds_write_b128 v209, v[16:19] offset:544
	ds_write_b128 v209, v[20:23] offset:1088
	;; [unrolled: 1-line block ×6, first 2 shown]
	s_and_saveexec_b64 s[34:35], s[2:3]
	s_cbranch_execz .LBB0_21
; %bb.20:
	buffer_load_dword v44, off, s[64:67], 0 offset:192 ; 4-byte Folded Reload
	buffer_load_dword v45, off, s[64:67], 0 offset:196 ; 4-byte Folded Reload
	;; [unrolled: 1-line block ×12, first 2 shown]
	v_mul_f64 v[16:17], v[70:71], v[34:35]
	v_mul_f64 v[18:19], v[74:75], v[42:43]
	;; [unrolled: 1-line block ×4, first 2 shown]
	v_fma_f64 v[16:17], v[68:69], v[32:33], v[16:17]
	v_fma_f64 v[18:19], v[72:73], v[40:41], v[18:19]
	;; [unrolled: 1-line block ×3, first 2 shown]
	v_fma_f64 v[10:11], v[213:214], v[10:11], -v[26:27]
	v_mul_f64 v[26:27], v[74:75], v[40:41]
	v_fma_f64 v[26:27], v[72:73], v[42:43], -v[26:27]
	s_waitcnt vmcnt(8)
	v_mul_f64 v[14:15], v[46:47], v[182:183]
	s_waitcnt vmcnt(4)
	v_mul_f64 v[20:21], v[38:39], v[6:7]
	;; [unrolled: 2-line block ×3, first 2 shown]
	v_mul_f64 v[24:25], v[46:47], v[180:181]
	v_mul_f64 v[28:29], v[50:51], v[184:185]
	v_mul_f64 v[30:31], v[38:39], v[4:5]
	v_fma_f64 v[12:13], v[44:45], v[180:181], v[14:15]
	v_fma_f64 v[4:5], v[36:37], v[4:5], v[20:21]
	;; [unrolled: 1-line block ×3, first 2 shown]
	v_fma_f64 v[22:23], v[44:45], v[182:183], -v[24:25]
	v_fma_f64 v[24:25], v[48:49], v[186:187], -v[28:29]
	v_fma_f64 v[6:7], v[36:37], v[6:7], -v[30:31]
	v_mul_f64 v[28:29], v[70:71], v[32:33]
	v_add_f64 v[14:15], v[16:17], -v[18:19]
	v_add_f64 v[16:17], v[18:19], v[16:17]
	v_add_f64 v[30:31], v[4:5], -v[20:21]
	v_add_f64 v[32:33], v[10:11], v[22:23]
	v_add_f64 v[4:5], v[4:5], v[20:21]
	;; [unrolled: 1-line block ×3, first 2 shown]
	v_fma_f64 v[28:29], v[68:69], v[34:35], -v[28:29]
	v_add_f64 v[34:35], v[8:9], -v[12:13]
	v_add_f64 v[8:9], v[8:9], v[12:13]
	v_add_f64 v[6:7], v[6:7], -v[24:25]
	v_add_f64 v[38:39], v[14:15], -v[30:31]
	v_add_f64 v[44:45], v[14:15], v[30:31]
	v_add_f64 v[10:11], v[10:11], -v[22:23]
	v_add_f64 v[40:41], v[36:37], v[32:33]
	v_add_f64 v[42:43], v[26:27], v[28:29]
	v_add_f64 v[12:13], v[34:35], -v[14:15]
	v_add_f64 v[26:27], v[28:29], -v[26:27]
	;; [unrolled: 1-line block ×3, first 2 shown]
	v_mul_f64 v[14:15], v[38:39], s[22:23]
	v_add_f64 v[38:39], v[44:45], v[34:35]
	v_add_f64 v[20:21], v[42:43], v[40:41]
	;; [unrolled: 1-line block ×3, first 2 shown]
	v_add_f64 v[24:25], v[32:33], -v[42:43]
	v_add_f64 v[28:29], v[42:43], -v[36:37]
	v_fma_f64 v[18:19], v[12:13], s[30:31], v[14:15]
	v_add_f64 v[22:23], v[26:27], -v[6:7]
	v_add_f64 v[34:35], v[10:11], -v[26:27]
	v_add_f64 v[26:27], v[26:27], v[6:7]
	v_add_f64 v[2:3], v[2:3], v[20:21]
	;; [unrolled: 1-line block ×3, first 2 shown]
	v_mul_f64 v[24:25], v[24:25], s[18:19]
	v_mul_f64 v[46:47], v[30:31], s[8:9]
	v_fma_f64 v[42:43], v[38:39], s[24:25], v[18:19]
	v_add_f64 v[18:19], v[8:9], -v[16:17]
	v_add_f64 v[16:17], v[16:17], -v[4:5]
	v_mul_f64 v[22:23], v[22:23], s[22:23]
	v_add_f64 v[32:33], v[36:37], -v[32:33]
	v_add_f64 v[0:1], v[0:1], v[40:41]
	v_add_f64 v[6:7], v[6:7], -v[10:11]
	v_fma_f64 v[20:21], v[20:21], s[28:29], v[2:3]
	v_mul_f64 v[44:45], v[28:29], s[10:11]
	v_mul_f64 v[18:19], v[18:19], s[18:19]
	v_fma_f64 v[28:29], v[28:29], s[10:11], v[24:25]
	v_fma_f64 v[48:49], v[34:35], s[30:31], v[22:23]
	v_add_f64 v[10:11], v[26:27], v[10:11]
	v_fma_f64 v[40:41], v[40:41], s[28:29], v[0:1]
	v_fma_f64 v[12:13], v[12:13], s[26:27], -v[46:47]
	v_fma_f64 v[24:25], v[32:33], s[20:21], -v[24:25]
	v_add_f64 v[4:5], v[4:5], -v[8:9]
	v_fma_f64 v[36:37], v[16:17], s[10:11], v[18:19]
	v_mul_f64 v[8:9], v[6:7], s[8:9]
	v_add_f64 v[26:27], v[28:29], v[20:21]
	v_mul_f64 v[16:17], v[16:17], s[10:11]
	v_fma_f64 v[14:15], v[30:31], s[8:9], -v[14:15]
	v_fma_f64 v[12:13], v[38:39], s[24:25], v[12:13]
	v_add_f64 v[24:25], v[24:25], v[20:21]
	v_fma_f64 v[22:23], v[6:7], s[8:9], -v[22:23]
	v_add_f64 v[28:29], v[36:37], v[40:41]
	v_fma_f64 v[36:37], v[10:11], s[24:25], v[48:49]
	v_fma_f64 v[8:9], v[34:35], s[26:27], -v[8:9]
	v_fma_f64 v[18:19], v[4:5], s[20:21], -v[18:19]
	;; [unrolled: 1-line block ×3, first 2 shown]
	v_fma_f64 v[30:31], v[38:39], s[24:25], v[14:15]
	v_fma_f64 v[32:33], v[32:33], s[16:17], -v[44:45]
	v_fma_f64 v[38:39], v[10:11], s[24:25], v[22:23]
	v_add_f64 v[22:23], v[24:25], -v[12:13]
	v_add_f64 v[4:5], v[28:29], -v[36:37]
	v_fma_f64 v[8:9], v[10:11], s[24:25], v[8:9]
	v_add_f64 v[10:11], v[12:13], v[24:25]
	v_add_f64 v[24:25], v[36:37], v[28:29]
	buffer_load_dword v28, off, s[64:67], 0 offset:224 ; 4-byte Folded Reload
	v_add_f64 v[20:21], v[32:33], v[20:21]
	v_add_f64 v[32:33], v[18:19], v[40:41]
	;; [unrolled: 1-line block ×4, first 2 shown]
	v_add_f64 v[26:27], v[26:27], -v[42:43]
	v_add_f64 v[14:15], v[20:21], -v[30:31]
	v_add_f64 v[18:19], v[30:31], v[20:21]
	v_add_f64 v[20:21], v[8:9], v[32:33]
	v_add_f64 v[16:17], v[34:35], -v[38:39]
	v_add_f64 v[12:13], v[38:39], v[34:35]
	v_add_f64 v[8:9], v[32:33], -v[8:9]
	s_waitcnt vmcnt(0)
	v_mul_u32_u24_e32 v28, 0xee, v28
	v_add_lshl_u32 v28, v28, v67, 4
	ds_write_b128 v28, v[0:3]
	ds_write_b128 v28, v[24:27] offset:544
	ds_write_b128 v28, v[20:23] offset:1088
	;; [unrolled: 1-line block ×6, first 2 shown]
.LBB0_21:
	s_or_b64 exec, exec, s[34:35]
	s_waitcnt lgkmcnt(0)
	s_barrier
	ds_read_b128 v[0:3], v220
	ds_read_b128 v[4:7], v220 offset:1904
	ds_read_b128 v[8:11], v220 offset:3808
	;; [unrolled: 1-line block ×7, first 2 shown]
	s_waitcnt lgkmcnt(5)
	v_mul_f64 v[48:49], v[102:103], v[10:11]
	v_mul_f64 v[50:51], v[102:103], v[8:9]
	ds_read_b128 v[32:35], v220 offset:15232
	ds_read_b128 v[36:39], v220 offset:17136
	s_waitcnt lgkmcnt(5)
	v_mul_f64 v[52:53], v[98:99], v[18:19]
	s_waitcnt lgkmcnt(3)
	v_mul_f64 v[56:57], v[94:95], v[26:27]
	ds_read_b128 v[40:43], v220 offset:19040
	ds_read_b128 v[44:47], v220 offset:20944
	v_mul_f64 v[54:55], v[98:99], v[16:17]
	v_mul_f64 v[58:59], v[122:123], v[14:15]
	v_fma_f64 v[8:9], v[100:101], v[8:9], v[48:49]
	v_fma_f64 v[10:11], v[100:101], v[10:11], -v[50:51]
	v_mul_f64 v[48:49], v[94:95], v[24:25]
	s_waitcnt lgkmcnt(3)
	v_mul_f64 v[50:51], v[90:91], v[34:35]
	v_fma_f64 v[16:17], v[96:97], v[16:17], v[52:53]
	v_mul_f64 v[52:53], v[90:91], v[32:33]
	v_fma_f64 v[24:25], v[92:93], v[24:25], v[56:57]
	s_waitcnt lgkmcnt(1)
	v_mul_f64 v[56:57], v[106:107], v[40:41]
	v_fma_f64 v[18:19], v[96:97], v[18:19], -v[54:55]
	v_mul_f64 v[54:55], v[106:107], v[42:43]
	v_fma_f64 v[26:27], v[92:93], v[26:27], -v[48:49]
	v_mul_f64 v[48:49], v[122:123], v[12:13]
	v_fma_f64 v[32:33], v[88:89], v[32:33], v[50:51]
	v_mul_f64 v[50:51], v[118:119], v[22:23]
	v_fma_f64 v[34:35], v[88:89], v[34:35], -v[52:53]
	v_fma_f64 v[42:43], v[104:105], v[42:43], -v[56:57]
	v_fma_f64 v[52:53], v[120:121], v[12:13], v[58:59]
	v_mul_f64 v[12:13], v[118:119], v[20:21]
	v_fma_f64 v[40:41], v[104:105], v[40:41], v[54:55]
	v_fma_f64 v[48:49], v[120:121], v[14:15], -v[48:49]
	v_mul_f64 v[14:15], v[114:115], v[30:31]
	v_fma_f64 v[50:51], v[116:117], v[20:21], v[50:51]
	v_mul_f64 v[20:21], v[110:111], v[38:39]
	v_mul_f64 v[54:55], v[114:115], v[28:29]
	;; [unrolled: 1-line block ×3, first 2 shown]
	s_waitcnt lgkmcnt(0)
	v_mul_f64 v[58:59], v[86:87], v[46:47]
	v_fma_f64 v[22:23], v[116:117], v[22:23], -v[12:13]
	v_add_f64 v[12:13], v[16:17], v[32:33]
	v_fma_f64 v[28:29], v[112:113], v[28:29], v[14:15]
	v_add_f64 v[14:15], v[0:1], v[16:17]
	v_fma_f64 v[36:37], v[108:109], v[36:37], v[20:21]
	v_add_f64 v[20:21], v[26:27], v[42:43]
	v_fma_f64 v[30:31], v[112:113], v[30:31], -v[54:55]
	v_fma_f64 v[38:39], v[108:109], v[38:39], -v[56:57]
	v_fma_f64 v[54:55], v[84:85], v[44:45], v[58:59]
	v_fma_f64 v[0:1], v[12:13], -0.5, v[0:1]
	v_add_f64 v[12:13], v[18:19], -v[34:35]
	v_add_f64 v[56:57], v[14:15], v[32:33]
	v_add_f64 v[14:15], v[24:25], v[40:41]
	v_fma_f64 v[20:21], v[20:21], -0.5, v[10:11]
	v_add_f64 v[58:59], v[24:25], -v[40:41]
	s_mov_b32 s8, 0xe8584caa
	s_mov_b32 s9, 0xbfebb67a
	s_mov_b32 s3, 0x3febb67a
	s_mov_b32 s2, s8
	v_mul_f64 v[44:45], v[86:87], v[44:45]
	v_fma_f64 v[60:61], v[12:13], s[8:9], v[0:1]
	v_add_f64 v[62:63], v[18:19], v[34:35]
	v_fma_f64 v[14:15], v[14:15], -0.5, v[8:9]
	v_add_f64 v[64:65], v[26:27], -v[42:43]
	v_fma_f64 v[66:67], v[12:13], s[2:3], v[0:1]
	v_fma_f64 v[0:1], v[58:59], s[2:3], v[20:21]
	;; [unrolled: 1-line block ×3, first 2 shown]
	v_add_f64 v[18:19], v[2:3], v[18:19]
	v_add_f64 v[8:9], v[8:9], v[24:25]
	v_fma_f64 v[2:3], v[62:63], -0.5, v[2:3]
	v_add_f64 v[16:17], v[16:17], -v[32:33]
	v_fma_f64 v[20:21], v[64:65], s[8:9], v[14:15]
	v_fma_f64 v[14:15], v[64:65], s[2:3], v[14:15]
	v_mul_f64 v[24:25], v[0:1], s[8:9]
	v_mul_f64 v[32:33], v[12:13], s[8:9]
	v_add_f64 v[10:11], v[10:11], v[26:27]
	v_add_f64 v[18:19], v[18:19], v[34:35]
	v_mul_f64 v[0:1], v[0:1], 0.5
	v_add_f64 v[34:35], v[8:9], v[40:41]
	v_fma_f64 v[44:45], v[84:85], v[46:47], -v[44:45]
	v_mul_f64 v[12:13], v[12:13], -0.5
	v_fma_f64 v[26:27], v[16:17], s[2:3], v[2:3]
	v_fma_f64 v[24:25], v[20:21], 0.5, v[24:25]
	v_fma_f64 v[32:33], v[14:15], -0.5, v[32:33]
	v_add_f64 v[40:41], v[10:11], v[42:43]
	v_fma_f64 v[42:43], v[16:17], s[8:9], v[2:3]
	v_fma_f64 v[58:59], v[20:21], s[2:3], v[0:1]
	v_add_f64 v[0:1], v[56:57], v[34:35]
	v_add_f64 v[46:47], v[50:51], v[36:37]
	v_add_f64 v[16:17], v[56:57], -v[34:35]
	v_add_f64 v[34:35], v[30:31], v[44:45]
	v_fma_f64 v[62:63], v[14:15], s[2:3], v[12:13]
	v_add_f64 v[8:9], v[60:61], v[24:25]
	v_add_f64 v[12:13], v[66:67], v[32:33]
	;; [unrolled: 1-line block ×3, first 2 shown]
	v_add_f64 v[20:21], v[60:61], -v[24:25]
	v_add_f64 v[56:57], v[4:5], v[50:51]
	v_add_f64 v[24:25], v[66:67], -v[32:33]
	v_fma_f64 v[4:5], v[46:47], -0.5, v[4:5]
	v_add_f64 v[32:33], v[22:23], -v[38:39]
	v_add_f64 v[46:47], v[28:29], v[54:55]
	v_add_f64 v[18:19], v[18:19], -v[40:41]
	v_fma_f64 v[34:35], v[34:35], -0.5, v[48:49]
	v_add_f64 v[40:41], v[28:29], -v[54:55]
	v_add_f64 v[60:61], v[6:7], v[22:23]
	v_add_f64 v[22:23], v[22:23], v[38:39]
	v_add_f64 v[66:67], v[30:31], -v[44:45]
	v_fma_f64 v[64:65], v[32:33], s[8:9], v[4:5]
	v_fma_f64 v[46:47], v[46:47], -0.5, v[52:53]
	v_fma_f64 v[68:69], v[32:33], s[2:3], v[4:5]
	v_add_f64 v[28:29], v[52:53], v[28:29]
	v_fma_f64 v[4:5], v[40:41], s[2:3], v[34:35]
	v_fma_f64 v[32:33], v[40:41], s[8:9], v[34:35]
	v_add_f64 v[30:31], v[48:49], v[30:31]
	v_fma_f64 v[6:7], v[22:23], -0.5, v[6:7]
	v_add_f64 v[22:23], v[50:51], -v[36:37]
	v_fma_f64 v[34:35], v[66:67], s[8:9], v[46:47]
	v_add_f64 v[56:57], v[56:57], v[36:37]
	v_fma_f64 v[36:37], v[66:67], s[2:3], v[46:47]
	v_mul_f64 v[40:41], v[4:5], s[8:9]
	v_mul_f64 v[4:5], v[4:5], 0.5
	v_mul_f64 v[46:47], v[32:33], s[8:9]
	v_mul_f64 v[32:33], v[32:33], -0.5
	v_add_f64 v[38:39], v[60:61], v[38:39]
	v_add_f64 v[52:53], v[28:29], v[54:55]
	;; [unrolled: 1-line block ×3, first 2 shown]
	v_fma_f64 v[48:49], v[22:23], s[2:3], v[6:7]
	v_fma_f64 v[40:41], v[34:35], 0.5, v[40:41]
	v_fma_f64 v[60:61], v[34:35], s[2:3], v[4:5]
	v_fma_f64 v[50:51], v[22:23], s[8:9], v[6:7]
	v_fma_f64 v[46:47], v[36:37], -0.5, v[46:47]
	v_fma_f64 v[66:67], v[36:37], s[2:3], v[32:33]
	v_add_f64 v[10:11], v[26:27], v[58:59]
	v_add_f64 v[14:15], v[42:43], v[62:63]
	v_add_f64 v[22:23], v[26:27], -v[58:59]
	v_add_f64 v[26:27], v[42:43], -v[62:63]
	v_add_f64 v[4:5], v[56:57], v[52:53]
	v_add_f64 v[6:7], v[38:39], v[54:55]
	;; [unrolled: 1-line block ×6, first 2 shown]
	v_add_f64 v[36:37], v[56:57], -v[52:53]
	v_add_f64 v[40:41], v[64:65], -v[40:41]
	;; [unrolled: 1-line block ×6, first 2 shown]
	ds_write_b128 v220, v[0:3]
	ds_write_b128 v220, v[8:11] offset:3808
	ds_write_b128 v220, v[12:15] offset:7616
	ds_write_b128 v220, v[16:19] offset:11424
	ds_write_b128 v220, v[20:23] offset:15232
	ds_write_b128 v220, v[24:27] offset:19040
	ds_write_b128 v220, v[4:7] offset:1904
	ds_write_b128 v220, v[28:31] offset:5712
	ds_write_b128 v220, v[32:35] offset:9520
	ds_write_b128 v220, v[36:39] offset:13328
	ds_write_b128 v220, v[40:43] offset:17136
	ds_write_b128 v220, v[44:47] offset:20944
	s_waitcnt lgkmcnt(0)
	s_barrier
	s_and_b64 exec, exec, s[0:1]
	s_cbranch_execz .LBB0_23
; %bb.22:
	global_load_dwordx4 v[0:3], v255, s[12:13]
	ds_read_b128 v[4:7], v220
	v_mad_u64_u32 v[12:13], s[0:1], s6, v208, 0
	v_mad_u64_u32 v[14:15], s[0:1], s4, v212, 0
	ds_read_b128 v[8:11], v255 offset:1344
	ds_read_b128 v[16:19], v255 offset:21504
	s_mul_i32 s3, s5, 0x540
	v_mad_u64_u32 v[22:23], s[0:1], s7, v208, v[13:14]
	s_mul_i32 s2, s4, 0x540
	s_waitcnt lgkmcnt(0)
	v_mad_u64_u32 v[23:24], s[0:1], s5, v212, v[15:16]
	s_mov_b32 s0, 0x16f26017
	s_mov_b32 s1, 0x3f46f260
	v_mov_b32_e32 v13, v22
	v_mov_b32_e32 v15, v23
	s_mul_hi_u32 s5, s4, 0x540
	s_add_i32 s3, s5, s3
	s_movk_i32 s4, 0x1000
	s_waitcnt vmcnt(0)
	v_mul_f64 v[20:21], v[6:7], v[2:3]
	v_mul_f64 v[2:3], v[4:5], v[2:3]
	v_fma_f64 v[4:5], v[4:5], v[0:1], v[20:21]
	v_fma_f64 v[2:3], v[0:1], v[6:7], -v[2:3]
	v_lshlrev_b64 v[6:7], 4, v[12:13]
	v_mov_b32_e32 v20, s15
	v_lshlrev_b64 v[12:13], 4, v[14:15]
	v_mul_f64 v[0:1], v[4:5], s[0:1]
	v_mul_f64 v[2:3], v[2:3], s[0:1]
	v_add_co_u32_e32 v4, vcc, s14, v6
	v_addc_co_u32_e32 v5, vcc, v20, v7, vcc
	v_add_co_u32_e32 v4, vcc, v4, v12
	v_addc_co_u32_e32 v5, vcc, v5, v13, vcc
	global_store_dwordx4 v[4:5], v[0:3], off
	global_load_dwordx4 v[0:3], v255, s[12:13] offset:1344
	v_add_co_u32_e32 v12, vcc, s2, v4
	s_waitcnt vmcnt(0)
	v_mul_f64 v[6:7], v[10:11], v[2:3]
	v_mul_f64 v[2:3], v[8:9], v[2:3]
	v_fma_f64 v[6:7], v[8:9], v[0:1], v[6:7]
	v_fma_f64 v[2:3], v[0:1], v[10:11], -v[2:3]
	v_mul_f64 v[0:1], v[6:7], s[0:1]
	v_mul_f64 v[2:3], v[2:3], s[0:1]
	v_mov_b32_e32 v6, s3
	v_addc_co_u32_e32 v13, vcc, v5, v6, vcc
	global_store_dwordx4 v[12:13], v[0:3], off
	global_load_dwordx4 v[0:3], v255, s[12:13] offset:2688
	ds_read_b128 v[4:7], v255 offset:2688
	ds_read_b128 v[8:11], v255 offset:4032
	s_waitcnt vmcnt(0) lgkmcnt(1)
	v_mul_f64 v[14:15], v[6:7], v[2:3]
	v_mul_f64 v[2:3], v[4:5], v[2:3]
	v_fma_f64 v[4:5], v[4:5], v[0:1], v[14:15]
	v_fma_f64 v[2:3], v[0:1], v[6:7], -v[2:3]
	v_mul_f64 v[0:1], v[4:5], s[0:1]
	v_mul_f64 v[2:3], v[2:3], s[0:1]
	v_mov_b32_e32 v5, s3
	v_add_co_u32_e32 v4, vcc, s2, v12
	v_addc_co_u32_e32 v5, vcc, v13, v5, vcc
	v_mov_b32_e32 v12, s13
	v_add_co_u32_e32 v22, vcc, s12, v255
	global_store_dwordx4 v[4:5], v[0:3], off
	global_load_dwordx4 v[0:3], v255, s[12:13] offset:4032
	v_addc_co_u32_e32 v23, vcc, 0, v12, vcc
	v_add_co_u32_e32 v12, vcc, s4, v22
	v_addc_co_u32_e32 v13, vcc, 0, v23, vcc
	v_add_co_u32_e32 v14, vcc, s2, v4
	s_movk_i32 s4, 0x2000
	s_waitcnt vmcnt(0) lgkmcnt(0)
	v_mul_f64 v[6:7], v[10:11], v[2:3]
	v_mul_f64 v[2:3], v[8:9], v[2:3]
	v_fma_f64 v[6:7], v[8:9], v[0:1], v[6:7]
	v_fma_f64 v[2:3], v[0:1], v[10:11], -v[2:3]
	v_mov_b32_e32 v8, s3
	v_addc_co_u32_e32 v15, vcc, v5, v8, vcc
	v_mul_f64 v[0:1], v[6:7], s[0:1]
	v_mul_f64 v[2:3], v[2:3], s[0:1]
	global_store_dwordx4 v[14:15], v[0:3], off
	global_load_dwordx4 v[0:3], v[12:13], off offset:1280
	ds_read_b128 v[4:7], v255 offset:5376
	ds_read_b128 v[8:11], v255 offset:6720
	s_waitcnt vmcnt(0) lgkmcnt(1)
	v_mul_f64 v[20:21], v[6:7], v[2:3]
	v_mul_f64 v[2:3], v[4:5], v[2:3]
	v_fma_f64 v[4:5], v[4:5], v[0:1], v[20:21]
	v_fma_f64 v[2:3], v[0:1], v[6:7], -v[2:3]
	v_mul_f64 v[0:1], v[4:5], s[0:1]
	v_mul_f64 v[2:3], v[2:3], s[0:1]
	v_mov_b32_e32 v5, s3
	v_add_co_u32_e32 v4, vcc, s2, v14
	v_addc_co_u32_e32 v5, vcc, v15, v5, vcc
	v_add_co_u32_e32 v14, vcc, s2, v4
	global_store_dwordx4 v[4:5], v[0:3], off
	global_load_dwordx4 v[0:3], v[12:13], off offset:2624
	s_waitcnt vmcnt(0) lgkmcnt(0)
	v_mul_f64 v[6:7], v[10:11], v[2:3]
	v_mul_f64 v[2:3], v[8:9], v[2:3]
	v_fma_f64 v[6:7], v[8:9], v[0:1], v[6:7]
	v_fma_f64 v[2:3], v[0:1], v[10:11], -v[2:3]
	v_mul_f64 v[0:1], v[6:7], s[0:1]
	v_mul_f64 v[2:3], v[2:3], s[0:1]
	v_mov_b32_e32 v6, s3
	v_addc_co_u32_e32 v15, vcc, v5, v6, vcc
	global_store_dwordx4 v[14:15], v[0:3], off
	global_load_dwordx4 v[0:3], v[12:13], off offset:3968
	ds_read_b128 v[4:7], v255 offset:8064
	ds_read_b128 v[8:11], v255 offset:9408
	s_waitcnt vmcnt(0) lgkmcnt(1)
	v_mul_f64 v[12:13], v[6:7], v[2:3]
	v_mul_f64 v[2:3], v[4:5], v[2:3]
	v_fma_f64 v[4:5], v[4:5], v[0:1], v[12:13]
	v_fma_f64 v[2:3], v[0:1], v[6:7], -v[2:3]
	v_add_co_u32_e32 v12, vcc, s4, v22
	v_addc_co_u32_e32 v13, vcc, 0, v23, vcc
	v_mov_b32_e32 v6, s3
	s_movk_i32 s4, 0x3000
	v_mul_f64 v[0:1], v[4:5], s[0:1]
	v_mul_f64 v[2:3], v[2:3], s[0:1]
	v_add_co_u32_e32 v4, vcc, s2, v14
	v_addc_co_u32_e32 v5, vcc, v15, v6, vcc
	v_add_co_u32_e32 v14, vcc, s2, v4
	global_store_dwordx4 v[4:5], v[0:3], off
	global_load_dwordx4 v[0:3], v[12:13], off offset:1216
	s_waitcnt vmcnt(0) lgkmcnt(0)
	v_mul_f64 v[6:7], v[10:11], v[2:3]
	v_mul_f64 v[2:3], v[8:9], v[2:3]
	v_fma_f64 v[6:7], v[8:9], v[0:1], v[6:7]
	v_fma_f64 v[2:3], v[0:1], v[10:11], -v[2:3]
	v_mul_f64 v[0:1], v[6:7], s[0:1]
	v_mul_f64 v[2:3], v[2:3], s[0:1]
	v_mov_b32_e32 v6, s3
	v_addc_co_u32_e32 v15, vcc, v5, v6, vcc
	global_store_dwordx4 v[14:15], v[0:3], off
	global_load_dwordx4 v[0:3], v[12:13], off offset:2560
	ds_read_b128 v[4:7], v255 offset:10752
	ds_read_b128 v[8:11], v255 offset:12096
	s_waitcnt vmcnt(0) lgkmcnt(1)
	v_mul_f64 v[20:21], v[6:7], v[2:3]
	v_mul_f64 v[2:3], v[4:5], v[2:3]
	v_fma_f64 v[4:5], v[4:5], v[0:1], v[20:21]
	v_fma_f64 v[2:3], v[0:1], v[6:7], -v[2:3]
	v_mul_f64 v[0:1], v[4:5], s[0:1]
	v_mul_f64 v[2:3], v[2:3], s[0:1]
	v_mov_b32_e32 v5, s3
	v_add_co_u32_e32 v4, vcc, s2, v14
	v_addc_co_u32_e32 v5, vcc, v15, v5, vcc
	global_store_dwordx4 v[4:5], v[0:3], off
	global_load_dwordx4 v[0:3], v[12:13], off offset:3904
	v_add_co_u32_e32 v12, vcc, s4, v22
	v_addc_co_u32_e32 v13, vcc, 0, v23, vcc
	v_add_co_u32_e32 v14, vcc, s2, v4
	s_movk_i32 s4, 0x4000
	s_waitcnt vmcnt(0) lgkmcnt(0)
	v_mul_f64 v[6:7], v[10:11], v[2:3]
	v_mul_f64 v[2:3], v[8:9], v[2:3]
	v_fma_f64 v[6:7], v[8:9], v[0:1], v[6:7]
	v_fma_f64 v[2:3], v[0:1], v[10:11], -v[2:3]
	v_mov_b32_e32 v8, s3
	v_addc_co_u32_e32 v15, vcc, v5, v8, vcc
	v_mul_f64 v[0:1], v[6:7], s[0:1]
	v_mul_f64 v[2:3], v[2:3], s[0:1]
	global_store_dwordx4 v[14:15], v[0:3], off
	global_load_dwordx4 v[0:3], v[12:13], off offset:1152
	ds_read_b128 v[4:7], v255 offset:13440
	ds_read_b128 v[8:11], v255 offset:14784
	s_waitcnt vmcnt(0) lgkmcnt(1)
	v_mul_f64 v[20:21], v[6:7], v[2:3]
	v_mul_f64 v[2:3], v[4:5], v[2:3]
	v_fma_f64 v[4:5], v[4:5], v[0:1], v[20:21]
	v_fma_f64 v[2:3], v[0:1], v[6:7], -v[2:3]
	v_mul_f64 v[0:1], v[4:5], s[0:1]
	v_mul_f64 v[2:3], v[2:3], s[0:1]
	v_mov_b32_e32 v5, s3
	v_add_co_u32_e32 v4, vcc, s2, v14
	v_addc_co_u32_e32 v5, vcc, v15, v5, vcc
	v_add_co_u32_e32 v14, vcc, s2, v4
	global_store_dwordx4 v[4:5], v[0:3], off
	global_load_dwordx4 v[0:3], v[12:13], off offset:2496
	s_waitcnt vmcnt(0) lgkmcnt(0)
	v_mul_f64 v[6:7], v[10:11], v[2:3]
	v_mul_f64 v[2:3], v[8:9], v[2:3]
	v_fma_f64 v[6:7], v[8:9], v[0:1], v[6:7]
	v_fma_f64 v[2:3], v[0:1], v[10:11], -v[2:3]
	v_mul_f64 v[0:1], v[6:7], s[0:1]
	v_mul_f64 v[2:3], v[2:3], s[0:1]
	v_mov_b32_e32 v6, s3
	v_addc_co_u32_e32 v15, vcc, v5, v6, vcc
	global_store_dwordx4 v[14:15], v[0:3], off
	global_load_dwordx4 v[0:3], v[12:13], off offset:3840
	ds_read_b128 v[4:7], v255 offset:16128
	ds_read_b128 v[8:11], v255 offset:17472
	s_waitcnt vmcnt(0) lgkmcnt(1)
	v_mul_f64 v[12:13], v[6:7], v[2:3]
	v_mul_f64 v[2:3], v[4:5], v[2:3]
	v_fma_f64 v[4:5], v[4:5], v[0:1], v[12:13]
	v_fma_f64 v[2:3], v[0:1], v[6:7], -v[2:3]
	v_add_co_u32_e32 v12, vcc, s4, v22
	v_addc_co_u32_e32 v13, vcc, 0, v23, vcc
	v_mov_b32_e32 v6, s3
	s_movk_i32 s4, 0x5000
	v_mul_f64 v[0:1], v[4:5], s[0:1]
	v_mul_f64 v[2:3], v[2:3], s[0:1]
	v_add_co_u32_e32 v4, vcc, s2, v14
	v_addc_co_u32_e32 v5, vcc, v15, v6, vcc
	v_add_co_u32_e32 v14, vcc, s2, v4
	global_store_dwordx4 v[4:5], v[0:3], off
	global_load_dwordx4 v[0:3], v[12:13], off offset:1088
	s_waitcnt vmcnt(0) lgkmcnt(0)
	v_mul_f64 v[6:7], v[10:11], v[2:3]
	v_mul_f64 v[2:3], v[8:9], v[2:3]
	v_fma_f64 v[6:7], v[8:9], v[0:1], v[6:7]
	v_fma_f64 v[2:3], v[0:1], v[10:11], -v[2:3]
	v_mul_f64 v[0:1], v[6:7], s[0:1]
	v_mul_f64 v[2:3], v[2:3], s[0:1]
	v_mov_b32_e32 v6, s3
	v_addc_co_u32_e32 v15, vcc, v5, v6, vcc
	global_store_dwordx4 v[14:15], v[0:3], off
	global_load_dwordx4 v[0:3], v[12:13], off offset:2432
	ds_read_b128 v[4:7], v255 offset:18816
	ds_read_b128 v[8:11], v255 offset:20160
	s_waitcnt vmcnt(0) lgkmcnt(1)
	v_mul_f64 v[20:21], v[6:7], v[2:3]
	v_mul_f64 v[2:3], v[4:5], v[2:3]
	v_fma_f64 v[4:5], v[4:5], v[0:1], v[20:21]
	v_fma_f64 v[2:3], v[0:1], v[6:7], -v[2:3]
	v_mul_f64 v[0:1], v[4:5], s[0:1]
	v_mul_f64 v[2:3], v[2:3], s[0:1]
	v_mov_b32_e32 v5, s3
	v_add_co_u32_e32 v4, vcc, s2, v14
	v_addc_co_u32_e32 v5, vcc, v15, v5, vcc
	global_store_dwordx4 v[4:5], v[0:3], off
	global_load_dwordx4 v[0:3], v[12:13], off offset:3776
	s_waitcnt vmcnt(0) lgkmcnt(0)
	v_mul_f64 v[6:7], v[10:11], v[2:3]
	v_mul_f64 v[2:3], v[8:9], v[2:3]
	v_fma_f64 v[6:7], v[8:9], v[0:1], v[6:7]
	v_fma_f64 v[2:3], v[0:1], v[10:11], -v[2:3]
	v_mov_b32_e32 v8, s3
	v_mul_f64 v[0:1], v[6:7], s[0:1]
	v_mul_f64 v[2:3], v[2:3], s[0:1]
	v_add_co_u32_e32 v6, vcc, s4, v22
	v_addc_co_u32_e32 v7, vcc, 0, v23, vcc
	v_add_co_u32_e32 v4, vcc, s2, v4
	v_addc_co_u32_e32 v5, vcc, v5, v8, vcc
	global_store_dwordx4 v[4:5], v[0:3], off
	global_load_dwordx4 v[0:3], v[6:7], off offset:1024
	v_add_co_u32_e32 v4, vcc, s2, v4
	s_waitcnt vmcnt(0)
	v_mul_f64 v[6:7], v[18:19], v[2:3]
	v_mul_f64 v[2:3], v[16:17], v[2:3]
	v_fma_f64 v[6:7], v[16:17], v[0:1], v[6:7]
	v_fma_f64 v[2:3], v[0:1], v[18:19], -v[2:3]
	v_mul_f64 v[0:1], v[6:7], s[0:1]
	v_mul_f64 v[2:3], v[2:3], s[0:1]
	v_mov_b32_e32 v6, s3
	v_addc_co_u32_e32 v5, vcc, v5, v6, vcc
	global_store_dwordx4 v[4:5], v[0:3], off
.LBB0_23:
	s_endpgm
	.section	.rodata,"a",@progbits
	.p2align	6, 0x0
	.amdhsa_kernel bluestein_single_fwd_len1428_dim1_dp_op_CI_CI
		.amdhsa_group_segment_fixed_size 22848
		.amdhsa_private_segment_fixed_size 652
		.amdhsa_kernarg_size 104
		.amdhsa_user_sgpr_count 6
		.amdhsa_user_sgpr_private_segment_buffer 1
		.amdhsa_user_sgpr_dispatch_ptr 0
		.amdhsa_user_sgpr_queue_ptr 0
		.amdhsa_user_sgpr_kernarg_segment_ptr 1
		.amdhsa_user_sgpr_dispatch_id 0
		.amdhsa_user_sgpr_flat_scratch_init 0
		.amdhsa_user_sgpr_private_segment_size 0
		.amdhsa_uses_dynamic_stack 0
		.amdhsa_system_sgpr_private_segment_wavefront_offset 1
		.amdhsa_system_sgpr_workgroup_id_x 1
		.amdhsa_system_sgpr_workgroup_id_y 0
		.amdhsa_system_sgpr_workgroup_id_z 0
		.amdhsa_system_sgpr_workgroup_info 0
		.amdhsa_system_vgpr_workitem_id 0
		.amdhsa_next_free_vgpr 256
		.amdhsa_next_free_sgpr 68
		.amdhsa_reserve_vcc 1
		.amdhsa_reserve_flat_scratch 0
		.amdhsa_float_round_mode_32 0
		.amdhsa_float_round_mode_16_64 0
		.amdhsa_float_denorm_mode_32 3
		.amdhsa_float_denorm_mode_16_64 3
		.amdhsa_dx10_clamp 1
		.amdhsa_ieee_mode 1
		.amdhsa_fp16_overflow 0
		.amdhsa_exception_fp_ieee_invalid_op 0
		.amdhsa_exception_fp_denorm_src 0
		.amdhsa_exception_fp_ieee_div_zero 0
		.amdhsa_exception_fp_ieee_overflow 0
		.amdhsa_exception_fp_ieee_underflow 0
		.amdhsa_exception_fp_ieee_inexact 0
		.amdhsa_exception_int_div_zero 0
	.end_amdhsa_kernel
	.text
.Lfunc_end0:
	.size	bluestein_single_fwd_len1428_dim1_dp_op_CI_CI, .Lfunc_end0-bluestein_single_fwd_len1428_dim1_dp_op_CI_CI
                                        ; -- End function
	.section	.AMDGPU.csdata,"",@progbits
; Kernel info:
; codeLenInByte = 32320
; NumSgprs: 72
; NumVgprs: 256
; ScratchSize: 652
; MemoryBound: 0
; FloatMode: 240
; IeeeMode: 1
; LDSByteSize: 22848 bytes/workgroup (compile time only)
; SGPRBlocks: 8
; VGPRBlocks: 63
; NumSGPRsForWavesPerEU: 72
; NumVGPRsForWavesPerEU: 256
; Occupancy: 1
; WaveLimiterHint : 1
; COMPUTE_PGM_RSRC2:SCRATCH_EN: 1
; COMPUTE_PGM_RSRC2:USER_SGPR: 6
; COMPUTE_PGM_RSRC2:TRAP_HANDLER: 0
; COMPUTE_PGM_RSRC2:TGID_X_EN: 1
; COMPUTE_PGM_RSRC2:TGID_Y_EN: 0
; COMPUTE_PGM_RSRC2:TGID_Z_EN: 0
; COMPUTE_PGM_RSRC2:TIDIG_COMP_CNT: 0
	.type	__hip_cuid_80de9ae045aaa825,@object ; @__hip_cuid_80de9ae045aaa825
	.section	.bss,"aw",@nobits
	.globl	__hip_cuid_80de9ae045aaa825
__hip_cuid_80de9ae045aaa825:
	.byte	0                               ; 0x0
	.size	__hip_cuid_80de9ae045aaa825, 1

	.ident	"AMD clang version 19.0.0git (https://github.com/RadeonOpenCompute/llvm-project roc-6.4.0 25133 c7fe45cf4b819c5991fe208aaa96edf142730f1d)"
	.section	".note.GNU-stack","",@progbits
	.addrsig
	.addrsig_sym __hip_cuid_80de9ae045aaa825
	.amdgpu_metadata
---
amdhsa.kernels:
  - .args:
      - .actual_access:  read_only
        .address_space:  global
        .offset:         0
        .size:           8
        .value_kind:     global_buffer
      - .actual_access:  read_only
        .address_space:  global
        .offset:         8
        .size:           8
        .value_kind:     global_buffer
      - .actual_access:  read_only
        .address_space:  global
        .offset:         16
        .size:           8
        .value_kind:     global_buffer
      - .actual_access:  read_only
        .address_space:  global
        .offset:         24
        .size:           8
        .value_kind:     global_buffer
      - .actual_access:  read_only
        .address_space:  global
        .offset:         32
        .size:           8
        .value_kind:     global_buffer
      - .offset:         40
        .size:           8
        .value_kind:     by_value
      - .address_space:  global
        .offset:         48
        .size:           8
        .value_kind:     global_buffer
      - .address_space:  global
        .offset:         56
        .size:           8
        .value_kind:     global_buffer
      - .address_space:  global
        .offset:         64
        .size:           8
        .value_kind:     global_buffer
      - .address_space:  global
        .offset:         72
        .size:           8
        .value_kind:     global_buffer
      - .offset:         80
        .size:           4
        .value_kind:     by_value
      - .address_space:  global
        .offset:         88
        .size:           8
        .value_kind:     global_buffer
      - .address_space:  global
        .offset:         96
        .size:           8
        .value_kind:     global_buffer
    .group_segment_fixed_size: 22848
    .kernarg_segment_align: 8
    .kernarg_segment_size: 104
    .language:       OpenCL C
    .language_version:
      - 2
      - 0
    .max_flat_workgroup_size: 119
    .name:           bluestein_single_fwd_len1428_dim1_dp_op_CI_CI
    .private_segment_fixed_size: 652
    .sgpr_count:     72
    .sgpr_spill_count: 0
    .symbol:         bluestein_single_fwd_len1428_dim1_dp_op_CI_CI.kd
    .uniform_work_group_size: 1
    .uses_dynamic_stack: false
    .vgpr_count:     256
    .vgpr_spill_count: 273
    .wavefront_size: 64
amdhsa.target:   amdgcn-amd-amdhsa--gfx906
amdhsa.version:
  - 1
  - 2
...

	.end_amdgpu_metadata
